;; amdgpu-corpus repo=ROCm/aiter kind=harvested arch=n/a opt=n/a

/root/src/amdgpu-assembly/repos/ROCm__aiter/hsa/gfx950/fmoe_2stages/fmoe_stage1_bf16_pertokenFp8_doweight_g1u1_48x64_3tg_pf3.co:	file format elf64-amdgpu

Disassembly of section .text:

0000000000002a00 <_ZN5aiter56fmoe_stage1_bf16_pertokenFp8_doweight_g1u1_48x64_3tg_pf3E>:
	s_and_b32 s1, s1, 0xffff                                   // 000000002A00: 8601FF01 0000FFFF
	s_load_dwordx2 s[8:9], s[0:1], 0x0                         // 000000002A08: C0060200 00000000
	s_load_dwordx2 s[20:21], s[0:1], 0x10                      // 000000002A10: C0060500 00000010
	s_load_dwordx2 s[24:25], s[0:1], 0x20                      // 000000002A18: C0060600 00000020
	s_load_dwordx2 s[48:49], s[0:1], 0x30                      // 000000002A20: C0060C00 00000030
	s_load_dwordx2 s[28:29], s[0:1], 0x40                      // 000000002A28: C0060700 00000040
	s_load_dwordx2 s[32:33], s[0:1], 0x50                      // 000000002A30: C0060800 00000050
	s_load_dwordx2 s[36:37], s[0:1], 0x60                      // 000000002A38: C0060900 00000060
	s_load_dwordx2 s[12:13], s[0:1], 0x70                      // 000000002A40: C0060300 00000070
	s_load_dwordx2 s[44:45], s[0:1], 0x80                      // 000000002A48: C0060B00 00000080
	s_mov_b32 s89, 0                                           // 000000002A50: BED90080
	s_load_dword s64, s[0:1], 0x90                             // 000000002A54: C0021000 00000090
	s_load_dword s65, s[0:1], 0xa0                             // 000000002A5C: C0021040 000000A0
	s_load_dword s66, s[0:1], 0xb0                             // 000000002A64: C0021080 000000B0
	s_load_dword s67, s[0:1], 0xc0                             // 000000002A6C: C00210C0 000000C0
	s_load_dword s68, s[0:1], 0xd0                             // 000000002A74: C0021100 000000D0
	s_load_dword s69, s[0:1], 0xe0                             // 000000002A7C: C0021140 000000E0
	s_load_dword s71, s[0:1], 0xf0                             // 000000002A84: C00211C0 000000F0
	s_load_dword s72, s[0:1], 0x100                            // 000000002A8C: C0021200 00000100
	s_load_dword s74, s[0:1], 0x110                            // 000000002A94: C0021280 00000110
	s_load_dword s76, s[0:1], 0x120                            // 000000002A9C: C0021300 00000120
	s_load_dword s56, s[0:1], 0x130                            // 000000002AA4: C0020E00 00000130
	s_load_dword s88, s[0:1], 0x140                            // 000000002AAC: C0021600 00000140
	s_load_dword s89, s[0:1], 0x150                            // 000000002AB4: C0021640 00000150
	s_load_dwordx2 s[40:41], s[0:1], 0x160                     // 000000002ABC: C0060A00 00000160
	v_lshrrev_b32_e32 v1, 10, v0                               // 000000002AC4: 2002008A
	v_lshrrev_b32_e32 v2, 10, v1                               // 000000002AC8: 2004028A
	v_and_b32_e32 v2, 0x3ff, v2                                // 000000002ACC: 260404FF 000003FF
	v_and_b32_e32 v1, 0x3ff, v1                                // 000000002AD4: 260202FF 000003FF
	v_and_b32_e32 v0, 0x3ff, v0                                // 000000002ADC: 260000FF 000003FF
	v_lshrrev_b32_e32 v3, 6, v0                                // 000000002AE4: 20060086
	v_and_b32_e32 v0, 63, v0                                   // 000000002AE8: 260000BF
	s_mov_b32 s2, s2                                           // 000000002AEC: BE820002
	s_mov_b32 s3, s3                                           // 000000002AF0: BE830003
	s_mov_b32 s4, s4                                           // 000000002AF4: BE840004
	v_readfirstlane_b32 s7, v3                                 // 000000002AF8: 7E0E0503
	s_waitcnt lgkmcnt(0)                                       // 000000002AFC: BF8CC07F
	s_and_b32 s49, s49, 0xffff                                 // 000000002B00: 8631FF31 0000FFFF
	s_load_dword s48, s[48:49], 0x0                            // 000000002B08: C0020C18 00000000
	s_and_b32 s45, s45, 0xffff                                 // 000000002B10: 862DFF2D 0000FFFF
	s_and_b32 s9, s9, 0xffff                                   // 000000002B18: 8609FF09 0000FFFF
	s_mul_i32 s60, s66, s68                                    // 000000002B20: 923C4442
	s_mul_i32 s61, s66, 4                                      // 000000002B24: 923D8442
	s_mov_b32 s22, s60                                         // 000000002B28: BE96003C
	s_mov_b32 s26, -16                                         // 000000002B2C: BE9A00D0
	s_mov_b32 s30, s61                                         // 000000002B30: BE9E003D
	s_mov_b32 s14, 0xc0                                        // 000000002B34: BE8E00FF 000000C0
	s_mov_b32 s38, -16                                         // 000000002B3C: BEA600D0
	s_mov_b32 s10, -16                                         // 000000002B40: BE8A00D0
	s_mov_b32 s34, 0x100                                       // 000000002B44: BEA200FF 00000100
	s_mov_b32 s23, 0x20000                                     // 000000002B4C: BE9700FF 00020000
	s_mov_b32 s27, 0x20000                                     // 000000002B54: BE9B00FF 00020000
	s_mov_b32 s31, 0x20000                                     // 000000002B5C: BE9F00FF 00020000
	s_mov_b32 s35, 0x20000                                     // 000000002B64: BEA300FF 00020000
	s_mov_b32 s15, 0x20000                                     // 000000002B6C: BE8F00FF 00020000
	s_mov_b32 s39, 0x20000                                     // 000000002B74: BEA700FF 00020000
	s_mov_b32 s11, 0x20000                                     // 000000002B7C: BE8B00FF 00020000
	s_and_b32 s21, s21, 0xffff                                 // 000000002B84: 8615FF15 0000FFFF
	s_and_b32 s25, s25, 0xffff                                 // 000000002B8C: 8619FF19 0000FFFF
	s_and_b32 s29, s29, 0xffff                                 // 000000002B94: 861DFF1D 0000FFFF
	s_and_b32 s33, s33, 0xffff                                 // 000000002B9C: 8621FF21 0000FFFF
	s_and_b32 s13, s13, 0xffff                                 // 000000002BA4: 860DFF0D 0000FFFF
	s_and_b32 s37, s37, 0xffff                                 // 000000002BAC: 8625FF25 0000FFFF
	s_or_b32 s21, s21, 0x40000                                 // 000000002BB4: 8715FF15 00040000
	s_or_b32 s25, s25, 0x40000                                 // 000000002BBC: 8719FF19 00040000
	s_or_b32 s29, s29, 0x40000                                 // 000000002BC4: 871DFF1D 00040000
	s_or_b32 s33, s33, 0x40000                                 // 000000002BCC: 8721FF21 00040000
	s_or_b32 s13, s13, 0x40000                                 // 000000002BD4: 870DFF0D 00040000
	s_or_b32 s37, s37, 0x40000                                 // 000000002BDC: 8725FF25 00040000
	s_mov_b32 s42, -16                                         // 000000002BE4: BEAA00D0
	s_mov_b32 s43, 0x20000                                     // 000000002BE8: BEAB00FF 00020000
	s_and_b32 s41, s41, 0xffff                                 // 000000002BF0: 8629FF29 0000FFFF
	s_or_b32 s41, s41, 0x40000                                 // 000000002BF8: 8729FF29 00040000
	v_accvgpr_write_b32 a71, 0                                 // 000000002C00: D3D94047 18000080
	v_mov_b32_e32 v78, 0                                       // 000000002C08: 7E9C0280
	s_waitcnt lgkmcnt(0)                                       // 000000002C0C: BF8CC07F
	s_mul_i32 s60, s3, 48                                      // 000000002C10: 923CB003
	s_cmp_lt_i32 s60, s48                                      // 000000002C14: BF04303C
	s_cbranch_scc0 label_1208                                  // 000000002C18: BF84117E
	s_mov_b32 s80, 0                                           // 000000002C1C: BED00080
	s_lshr_b32 s81, s64, s88                                   // 000000002C20: 8F515840
	s_mul_i32 s60, s3, 4                                       // 000000002C24: 923C8403
	s_add_u32 s44, s60, s44                                    // 000000002C28: 802C2C3C
	s_addc_u32 s45, 0, s45                                     // 000000002C2C: 822D2D80
	s_load_dword s5, s[44:45], 0x0                             // 000000002C30: C0020156 00000000
	s_mul_i32 s60, s3, 48                                      // 000000002C38: 923CB003
	s_mul_i32 s60, 4, s60                                      // 000000002C3C: 923C3C84
	s_add_u32 s12, s60, s12                                    // 000000002C40: 800C0C3C
	s_addc_u32 s13, 0, s13                                     // 000000002C44: 820D0D80
	v_and_b32_e32 v4, 15, v0                                   // 000000002C48: 2608008F
	v_lshlrev_b32_e32 v4, 2, v4                                // 000000002C4C: 24080882
	buffer_load_dword v30, v4, s[12:15], 0 offen               // 000000002C50: E0501000 80031E04
	v_add_u32_e32 v4, 64, v4                                   // 000000002C58: 680808C0
	buffer_load_dword v31, v4, s[12:15], 0 offen               // 000000002C5C: E0501000 80031F04
	v_add_u32_e32 v4, 64, v4                                   // 000000002C64: 680808C0
	buffer_load_dword v32, v4, s[12:15], 0 offen               // 000000002C68: E0501000 80032004
	v_add_u32_e32 v4, 64, v4                                   // 000000002C70: 680808C0
	s_mul_i32 s60, 4, s7                                       // 000000002C74: 923C0784
	v_lshlrev_b32_e32 v4, 4, v0                                // 000000002C78: 24080084
	v_add_u32_e32 v4, s60, v4                                  // 000000002C7C: 6808083C
	buffer_load_dword v3, v4, s[12:15], 0 offen                // 000000002C80: E0501000 80030304
	v_mov_b32_e32 v52, 0                                       // 000000002C88: 7E680280
	v_mov_b32_e32 v64, 0                                       // 000000002C8C: 7E800280
	v_mov_b32_e32 v53, 0                                       // 000000002C90: 7E6A0280
	v_mov_b32_e32 v65, 0                                       // 000000002C94: 7E820280
	v_mov_b32_e32 v54, 0                                       // 000000002C98: 7E6C0280
	v_mov_b32_e32 v66, 0                                       // 000000002C9C: 7E840280
	v_mov_b32_e32 v55, 0                                       // 000000002CA0: 7E6E0280
	v_mov_b32_e32 v67, 0                                       // 000000002CA4: 7E860280
	v_mov_b32_e32 v56, 0                                       // 000000002CA8: 7E700280
	v_mov_b32_e32 v68, 0                                       // 000000002CAC: 7E880280
	v_mov_b32_e32 v57, 0                                       // 000000002CB0: 7E720280
	v_mov_b32_e32 v69, 0                                       // 000000002CB4: 7E8A0280
	v_mov_b32_e32 v58, 0                                       // 000000002CB8: 7E740280
	v_mov_b32_e32 v70, 0                                       // 000000002CBC: 7E8C0280
	v_mov_b32_e32 v59, 0                                       // 000000002CC0: 7E760280
	v_mov_b32_e32 v71, 0                                       // 000000002CC4: 7E8E0280
	v_mov_b32_e32 v60, 0                                       // 000000002CC8: 7E780280
	v_mov_b32_e32 v72, 0                                       // 000000002CCC: 7E900280
	v_mov_b32_e32 v61, 0                                       // 000000002CD0: 7E7A0280
	v_mov_b32_e32 v73, 0                                       // 000000002CD4: 7E920280
	v_mov_b32_e32 v62, 0                                       // 000000002CD8: 7E7C0280
	v_mov_b32_e32 v74, 0                                       // 000000002CDC: 7E940280
	v_mov_b32_e32 v63, 0                                       // 000000002CE0: 7E7E0280
	v_mov_b32_e32 v75, 0                                       // 000000002CE4: 7E960280
	s_mul_i32 s60, s2, 0x80                                    // 000000002CE8: 923CFF02 00000080
	s_cmp_eq_u32 s88, 0                                        // 000000002CF0: BF068058
	s_cselect_b32 s61, 1, 2                                    // 000000002CF4: 853D8281
	s_mul_i32 s60, s60, s61                                    // 000000002CF8: 923C3D3C
	s_mov_b32 s90, s8                                          // 000000002CFC: BEDA0008
	s_mov_b32 s91, s9                                          // 000000002D00: BEDB0009
	s_add_u32 s8, s60, s8                                      // 000000002D04: 8008083C
	s_addc_u32 s9, 0, s9                                       // 000000002D08: 82090980
	v_lshrrev_b32_e32 v4, 4, v0                                // 000000002D0C: 20080084
	v_mul_lo_u32 v20, 34, v4                                   // 000000002D10: D2850014 000208A2
	v_and_b32_e32 v4, 15, v0                                   // 000000002D18: 2608008F
	v_mul_lo_u32 v5, 2, v4                                     // 000000002D1C: D2850005 00020882
	v_add_u32_e32 v20, v5, v20                                 // 000000002D24: 68282905
	s_mul_i32 s60, s7, 0x88                                    // 000000002D28: 923CFF07 00000088
	v_add_u32_e32 v20, s60, v20                                // 000000002D30: 6828283C
	v_lshlrev_b32_e32 v20, 2, v20                              // 000000002D34: 24282882
	v_and_b32_e32 v4, 31, v0                                   // 000000002D38: 2608009F
	v_lshrrev_b32_e32 v4, 1, v4                                // 000000002D3C: 20080881
	v_mul_lo_u32 v21, 34, v4                                   // 000000002D40: D2850015 000208A2
	v_lshrrev_b32_e32 v4, 5, v0                                // 000000002D48: 20080085
	v_mul_lo_u32 v4, 8, v4                                     // 000000002D4C: D2850004 00020888
	v_add_u32_e32 v21, v21, v4                                 // 000000002D54: 682A0915
	v_and_b32_e32 v5, 1, v0                                    // 000000002D58: 260A0081
	v_add_u32_e32 v21, v5, v21                                 // 000000002D5C: 682A2B05
	s_mul_i32 s60, s7, 2                                       // 000000002D60: 923C8207
	v_add_u32_e32 v21, s60, v21                                // 000000002D64: 682A2A3C
	v_lshlrev_b32_e32 v21, 2, v21                              // 000000002D68: 242A2A82
	s_mul_i32 s60, s7, 0x620                                   // 000000002D6C: 923CFF07 00000620
	s_add_u32 s48, 0, s60                                      // 000000002D74: 80303C80
	s_add_u32 s49, 0x1880, s48                                 // 000000002D78: 803130FF 00001880
	s_add_u32 s50, 0x1880, s49                                 // 000000002D80: 803231FF 00001880
	v_lshrrev_b32_e32 v4, 4, v0                                // 000000002D88: 20080084
	v_lshlrev_b32_e32 v5, 2, v4                                // 000000002D8C: 240A0882
	v_and_b32_e32 v4, 15, v0                                   // 000000002D90: 2608008F
	v_lshrrev_b32_e32 v6, 2, v4                                // 000000002D94: 200C0882
	v_lshlrev_b32_e32 v6, 5, v6                                // 000000002D98: 240C0C85
	v_add_u32_e32 v5, v6, v5                                   // 000000002D9C: 680A0B06
	v_and_b32_e32 v4, 3, v0                                    // 000000002DA0: 26080083
	v_mul_u32_u24_e32 v6, 0x188, v4                            // 000000002DA4: 100C08FF 00000188
	v_add_u32_e32 v5, v6, v5                                   // 000000002DAC: 680A0B06
	v_lshlrev_b32_e32 v2, 2, v5                                // 000000002DB0: 24040A82
	s_waitcnt lgkmcnt(0)                                       // 000000002DB4: BF8CC07F
	s_mul_i32 s60, s2, 64                                      // 000000002DB8: 923CC002
	s_mul_i32 s60, s60, s69                                    // 000000002DBC: 923C453C
	s_mul_i32 s61, s5, s72                                     // 000000002DC0: 923D4805
	s_add_u32 s60, s61, s60                                    // 000000002DC4: 803C3C3D
	s_add_u32 s24, s60, s24                                    // 000000002DC8: 8018183C
	s_addc_u32 s25, 0, s25                                     // 000000002DCC: 82191980
	s_lshr_b32 s60, s64, s88                                   // 000000002DD0: 8F3C5840
	s_mul_i32 s60, s4, s60                                     // 000000002DD4: 923C3C04
	s_lshr_b32 s60, s60, 7                                     // 000000002DD8: 8F3C873C
	s_mul_i32 s60, s60, 0x800                                  // 000000002DDC: 923CFF3C 00000800
	s_add_u32 s24, s60, s24                                    // 000000002DE4: 8018183C
	s_addc_u32 s25, 0, s25                                     // 000000002DE8: 82191980
	s_lshr_b32 s60, s69, s88                                   // 000000002DEC: 8F3C5845
	s_mul_i32 s60, s4, s60                                     // 000000002DF0: 923C3C04
	s_add_u32 s20, s60, s20                                    // 000000002DF4: 8014143C
	s_addc_u32 s21, 0, s21                                     // 000000002DF8: 82151580
	s_mul_i32 s60, s7, 16                                      // 000000002DFC: 923C9007
	s_mul_i32 s60, s60, s69                                    // 000000002E00: 923C453C
	v_lshlrev_b32_e32 v48, 4, v0                               // 000000002E04: 24600084
	v_add_u32_e32 v48, s60, v48                                // 000000002E08: 6860603C
	s_mul_i32 s60, 64, s69                                     // 000000002E0C: 923C45C0
	s_mov_b32 s84, s24                                         // 000000002E10: BED40018
	s_mov_b32 s85, s25                                         // 000000002E14: BED50019
	s_mov_b32 s86, s26                                         // 000000002E18: BED6001A
	s_mov_b32 s87, s27                                         // 000000002E1C: BED7001B
	s_mul_i32 s60, s69, s65                                    // 000000002E20: 923C4145
	s_add_u32 s84, s60, s84                                    // 000000002E24: 8054543C
	s_addc_u32 s85, 0, s85                                     // 000000002E28: 82555580
	v_lshrrev_b32_e32 v4, 4, v0                                // 000000002E2C: 20080084
	v_lshlrev_b32_e32 v5, 2, v4                                // 000000002E30: 240A0882
	v_and_b32_e32 v4, 15, v0                                   // 000000002E34: 2608008F
	v_lshrrev_b32_e32 v6, 2, v4                                // 000000002E38: 200C0882
	v_lshlrev_b32_e32 v6, 6, v6                                // 000000002E3C: 240C0C86
	v_add_u32_e32 v5, v6, v5                                   // 000000002E40: 680A0B06
	v_and_b32_e32 v4, 3, v0                                    // 000000002E44: 26080083
	v_add_u32_e32 v5, v4, v5                                   // 000000002E48: 680A0B04
	v_lshlrev_b32_e32 v22, 2, v5                               // 000000002E4C: 242C0A82
	s_mul_i32 s60, s7, 16                                      // 000000002E50: 923C9007
	s_mul_i32 s60, s60, 4                                      // 000000002E54: 923C843C
	v_add_u32_e32 v22, s60, v22                                // 000000002E58: 682C2C3C
	s_mul_i32 s60, s2, 64                                      // 000000002E5C: 923CC002
	s_mul_i32 s60, s60, 4                                      // 000000002E60: 923C843C
	s_mul_i32 s61, s5, s74                                     // 000000002E64: 923D4A05
	s_add_u32 s61, s61, s60                                    // 000000002E68: 803D3C3D
	s_add_u32 s32, s61, s32                                    // 000000002E6C: 8020203D
	s_addc_u32 s33, 0, s33                                     // 000000002E70: 82212180
	s_mov_b32 s57, 0x80                                        // 000000002E74: BEB900FF 00000080
	s_mov_b32 s58, 0x800                                       // 000000002E7C: BEBA00FF 00000800
	s_mov_b32 s83, s58                                         // 000000002E84: BED3003A
	s_mov_b32 s52, 0x7060302                                   // 000000002E88: BEB400FF 07060302
	s_mov_b32 s53, 0x400                                       // 000000002E90: BEB500FF 00000400
	s_mov_b32 s54, 0x40100                                     // 000000002E98: BEB600FF 00040100
	s_mov_b32 s55, 0x4020100                                   // 000000002EA0: BEB700FF 04020100
	s_mov_b32 s6, 0x3fb8aa3b                                   // 000000002EA8: BE8600FF 3FB8AA3B
	s_mov_b32 s78, 0xbd92220c                                  // 000000002EB0: BECE00FF BD92220C
	s_mov_b32 s79, 0xbd92220c                                  // 000000002EB8: BECF00FF BD92220C
	s_mov_b32 m0, s48                                          // 000000002EC0: BEFC0030
	v_mov_b32_e32 v1, 0xbfcc4231                               // 000000002EC4: 7E0202FF BFCC4231
	v_mov_b32_e32 v17, 0xffff0000                              // 000000002ECC: 7E2202FF FFFF0000
	v_mov_b32_e32 v18, 0x7fff0000                              // 000000002ED4: 7E2402FF 7FFF0000
	v_mov_b32_e32 v19, 0x7fff                                  // 000000002EDC: 7E2602FF 00007FFF
	s_waitcnt vmcnt(0) expcnt(0) lgkmcnt(0)                    // 000000002EE4: BF8C0000
	s_mul_i32 s60, s3, 48                                      // 000000002EE8: 923CB003
	s_mul_i32 s60, 4, s60                                      // 000000002EEC: 923C3C84
	s_add_u32 s40, s60, s40                                    // 000000002EF0: 8028283C
	s_addc_u32 s41, 0, s41                                     // 000000002EF4: 82292980
	v_and_b32_e32 v4, 15, v0                                   // 000000002EF8: 2608008F
	v_lshlrev_b32_e32 v4, 2, v4                                // 000000002EFC: 24080882
	buffer_load_dword v76, v4, s[40:43], 0 offen               // 000000002F00: E0501000 800A4C04
	buffer_load_dword v77, v4, s[40:43], 0 offen offset:64     // 000000002F08: E0501040 800A4D04
	buffer_load_dword v78, v4, s[40:43], 0 offen offset:128    // 000000002F10: E0501080 800A4E04
	v_lshrrev_b32_e32 v4, 5, v0                                // 000000002F18: 20080085
	v_xor_b32_e32 v5, 1, v4                                    // 000000002F1C: 2A0A0881
	v_readlane_b32 s82, v3, 0                                  // 000000002F20: D2890052 00010103
	s_and_b32 s82, s82, 0xffffff                               // 000000002F28: 8652FF52 00FFFFFF
	v_mul_lo_u32 v6, v5, s82                                   // 000000002F30: D2850006 0000A505
	v_readlane_b32 s82, v3, 1                                  // 000000002F38: D2890052 00010303
	s_and_b32 s82, s82, 0xffffff                               // 000000002F40: 8652FF52 00FFFFFF
	v_mul_lo_u32 v7, v4, s82                                   // 000000002F48: D2850007 0000A504
	v_add_u32_e32 v42, v6, v7                                  // 000000002F50: 68540F06
	v_mul_lo_u32 v42, v42, s68                                 // 000000002F54: D285002A 0000892A
	v_readlane_b32 s82, v3, 2                                  // 000000002F5C: D2890052 00010503
	s_and_b32 s82, s82, 0xffffff                               // 000000002F64: 8652FF52 00FFFFFF
	v_mul_lo_u32 v6, v5, s82                                   // 000000002F6C: D2850006 0000A505
	v_readlane_b32 s82, v3, 3                                  // 000000002F74: D2890052 00010703
	s_and_b32 s82, s82, 0xffffff                               // 000000002F7C: 8652FF52 00FFFFFF
	v_mul_lo_u32 v7, v4, s82                                   // 000000002F84: D2850007 0000A504
	v_add_u32_e32 v43, v6, v7                                  // 000000002F8C: 68560F06
	v_mul_lo_u32 v43, v43, s68                                 // 000000002F90: D285002B 0000892B
	v_readlane_b32 s82, v3, 4                                  // 000000002F98: D2890052 00010903
	s_and_b32 s82, s82, 0xffffff                               // 000000002FA0: 8652FF52 00FFFFFF
	v_mul_lo_u32 v6, v5, s82                                   // 000000002FA8: D2850006 0000A505
	v_readlane_b32 s82, v3, 5                                  // 000000002FB0: D2890052 00010B03
	s_and_b32 s82, s82, 0xffffff                               // 000000002FB8: 8652FF52 00FFFFFF
	v_mul_lo_u32 v7, v4, s82                                   // 000000002FC0: D2850007 0000A504
	v_add_u32_e32 v44, v6, v7                                  // 000000002FC8: 68580F06
	v_mul_lo_u32 v44, v44, s68                                 // 000000002FCC: D285002C 0000892C
	v_readlane_b32 s82, v3, 6                                  // 000000002FD4: D2890052 00010D03
	s_and_b32 s82, s82, 0xffffff                               // 000000002FDC: 8652FF52 00FFFFFF
	v_mul_lo_u32 v6, v5, s82                                   // 000000002FE4: D2850006 0000A505
	v_readlane_b32 s82, v3, 7                                  // 000000002FEC: D2890052 00010F03
	s_and_b32 s82, s82, 0xffffff                               // 000000002FF4: 8652FF52 00FFFFFF
	v_mul_lo_u32 v7, v4, s82                                   // 000000002FFC: D2850007 0000A504
	v_add_u32_e32 v45, v6, v7                                  // 000000003004: 685A0F06
	v_mul_lo_u32 v45, v45, s68                                 // 000000003008: D285002D 0000892D
	v_readlane_b32 s82, v3, 8                                  // 000000003010: D2890052 00011103
	s_and_b32 s82, s82, 0xffffff                               // 000000003018: 8652FF52 00FFFFFF
	v_mul_lo_u32 v6, v5, s82                                   // 000000003020: D2850006 0000A505
	v_readlane_b32 s82, v3, 9                                  // 000000003028: D2890052 00011303
	s_and_b32 s82, s82, 0xffffff                               // 000000003030: 8652FF52 00FFFFFF
	v_mul_lo_u32 v7, v4, s82                                   // 000000003038: D2850007 0000A504
	v_add_u32_e32 v46, v6, v7                                  // 000000003040: 685C0F06
	v_mul_lo_u32 v46, v46, s68                                 // 000000003044: D285002E 0000892E
	v_readlane_b32 s82, v3, 10                                 // 00000000304C: D2890052 00011503
	s_and_b32 s82, s82, 0xffffff                               // 000000003054: 8652FF52 00FFFFFF
	v_mul_lo_u32 v6, v5, s82                                   // 00000000305C: D2850006 0000A505
	v_readlane_b32 s82, v3, 11                                 // 000000003064: D2890052 00011703
	s_and_b32 s82, s82, 0xffffff                               // 00000000306C: 8652FF52 00FFFFFF
	v_mul_lo_u32 v7, v4, s82                                   // 000000003074: D2850007 0000A504
	v_add_u32_e32 v47, v6, v7                                  // 00000000307C: 685E0F06
	v_mul_lo_u32 v47, v47, s68                                 // 000000003080: D285002F 0000892F
	v_and_b32_e32 v4, 31, v0                                   // 000000003088: 2608009F
	v_lshlrev_b32_e32 v4, 2, v4                                // 00000000308C: 24080882
	v_add_u32_e32 v42, v42, v4                                 // 000000003090: 6854092A
	v_add_u32_e32 v43, v43, v4                                 // 000000003094: 6856092B
	v_add_u32_e32 v44, v44, v4                                 // 000000003098: 6858092C
	v_add_u32_e32 v45, v45, v4                                 // 00000000309C: 685A092D
	v_add_u32_e32 v46, v46, v4                                 // 0000000030A0: 685C092E
	v_add_u32_e32 v47, v47, v4                                 // 0000000030A4: 685E092F
	v_and_b32_e32 v30, 0xffffff, v30                           // 0000000030A8: 263C3CFF 00FFFFFF
	v_lshlrev_b32_e32 v30, 2, v30                              // 0000000030B0: 243C3C82
	v_and_b32_e32 v31, 0xffffff, v31                           // 0000000030B4: 263E3EFF 00FFFFFF
	v_lshlrev_b32_e32 v31, 2, v31                              // 0000000030BC: 243E3E82
	v_and_b32_e32 v32, 0xffffff, v32                           // 0000000030C0: 264040FF 00FFFFFF
	v_lshlrev_b32_e32 v32, 2, v32                              // 0000000030C8: 24404082
	s_lshl_b32 s3, s66, 2                                      // 0000000030CC: 8E038242
	buffer_load_dword v33, v30, s[28:31], 0 offen              // 0000000030D0: E0501000 8007211E
	buffer_load_dword v34, v31, s[28:31], 0 offen              // 0000000030D8: E0501000 8007221F
	buffer_load_dword v35, v32, s[28:31], 0 offen              // 0000000030E0: E0501000 80072320
	buffer_load_dword v24, v22, s[32:35], 0 offen              // 0000000030E8: E0501000 80081816
	s_mul_i32 s60, 4, s65                                      // 0000000030F0: 923C4184
	s_add_u32 s32, s60, s32                                    // 0000000030F4: 8020203C
	s_addc_u32 s33, 0, s33                                     // 0000000030F8: 82212180
	buffer_load_dword v27, v22, s[32:35], 0 offen              // 0000000030FC: E0501000 80081B16
	buffer_load_dword v42, s[20:23], 0 offen lds               // 000000003104: E0511000 8005002A
	s_add_u32 m0, 0x100, s48                                   // 00000000310C: 807C30FF 00000100
	buffer_load_dword v43, s[20:23], 0 offen lds               // 000000003114: E0511000 8005002B
	s_add_u32 m0, 0x200, s48                                   // 00000000311C: 807C30FF 00000200
	buffer_load_dword v44, s[20:23], 0 offen lds               // 000000003124: E0511000 8005002C
	s_add_u32 m0, 0x300, s48                                   // 00000000312C: 807C30FF 00000300
	buffer_load_dword v45, s[20:23], 0 offen lds               // 000000003134: E0511000 8005002D
	s_add_u32 m0, 0x400, s48                                   // 00000000313C: 807C30FF 00000400
	buffer_load_dword v46, s[20:23], 0 offen lds               // 000000003144: E0511000 8005002E
	s_add_u32 m0, 0x500, s48                                   // 00000000314C: 807C30FF 00000500
	buffer_load_dword v47, s[20:23], 0 offen lds               // 000000003154: E0511000 8005002F
	s_add_u32 m0, 0, s49                                       // 00000000315C: 807C3180
	s_add_u32 s20, s57, s20                                    // 000000003160: 80141439
	s_addc_u32 s21, 0, s21                                     // 000000003164: 82151580
	buffer_load_dwordx4 a[48:51], v48, s[24:27], 0 offen       // 000000003168: E05C1000 80863030
	buffer_load_dwordx4 a[52:55], v48, s[24:27], 0 offen offset:1024// 000000003170: E05C1400 80863430
	s_add_u32 s24, s58, s24                                    // 000000003178: 8018183A
	s_addc_u32 s25, 0, s25                                     // 00000000317C: 82191980
	buffer_load_dword v42, s[20:23], 0 offen lds               // 000000003180: E0511000 8005002A
	s_add_u32 m0, 0x100, s49                                   // 000000003188: 807C31FF 00000100
	buffer_load_dword v43, s[20:23], 0 offen lds               // 000000003190: E0511000 8005002B
	s_add_u32 m0, 0x200, s49                                   // 000000003198: 807C31FF 00000200
	buffer_load_dword v44, s[20:23], 0 offen lds               // 0000000031A0: E0511000 8005002C
	s_add_u32 m0, 0x300, s49                                   // 0000000031A8: 807C31FF 00000300
	buffer_load_dword v45, s[20:23], 0 offen lds               // 0000000031B0: E0511000 8005002D
	s_add_u32 m0, 0x400, s49                                   // 0000000031B8: 807C31FF 00000400
	buffer_load_dword v46, s[20:23], 0 offen lds               // 0000000031C0: E0511000 8005002E
	s_add_u32 m0, 0x500, s49                                   // 0000000031C8: 807C31FF 00000500
	buffer_load_dword v47, s[20:23], 0 offen lds               // 0000000031D0: E0511000 8005002F
	s_add_u32 m0, 0, s50                                       // 0000000031D8: 807C3280
	s_add_u32 s20, s57, s20                                    // 0000000031DC: 80141439
	s_addc_u32 s21, 0, s21                                     // 0000000031E0: 82151580
	buffer_load_dwordx4 a[56:59], v48, s[84:87], 0 offen       // 0000000031E4: E05C1000 80953830
	buffer_load_dwordx4 a[60:63], v48, s[84:87], 0 offen offset:1024// 0000000031EC: E05C1400 80953C30
	s_add_u32 s84, s83, s84                                    // 0000000031F4: 80545453
	s_addc_u32 s85, 0, s85                                     // 0000000031F8: 82555580
	s_waitcnt vmcnt(10)                                        // 0000000031FC: BF8C0F7A
	s_barrier                                                  // 000000003200: BF8A0000
	ds_read_b128 a[0:3], v2                                    // 000000003204: DBFE0000 00000002
	ds_read_b128 a[4:7], v2 offset:64                          // 00000000320C: DBFE0040 04000002
	ds_read_b128 a[8:11], v2 offset:512                        // 000000003214: DBFE0200 08000002
	ds_read_b128 a[12:15], v2 offset:576                       // 00000000321C: DBFE0240 0C000002
	ds_read_b128 a[16:19], v2 offset:1024                      // 000000003224: DBFE0400 10000002
	ds_read_b128 a[20:23], v2 offset:1088                      // 00000000322C: DBFE0440 14000002
	s_cmp_lt_i32 s7, 2                                         // 000000003234: BF048207
	s_cbranch_scc0 label_0A0D                                  // 000000003238: BF8407FB

000000000000323c <label_020F>:
	s_waitcnt vmcnt(8) lgkmcnt(0)                              // 00000000323C: BF8C0078
	v_mfma_f32_16x16x32_fp8_fp8 v[52:55], a[48:49], a[0:1], v[52:55]// 000000003240: D3F30034 1CD20130
	v_mfma_f32_16x16x32_fp8_fp8 v[52:55], a[50:51], a[2:3], v[52:55]// 000000003248: D3F30034 1CD20532
	buffer_load_dwordx4 a[64:67], v48, s[24:27], 0 offen       // 000000003250: E05C1000 80864030
	v_mfma_f32_16x16x32_fp8_fp8 v[52:55], a[52:53], a[4:5], v[52:55]// 000000003258: D3F30034 1CD20934
	v_mfma_f32_16x16x32_fp8_fp8 v[52:55], a[54:55], a[6:7], v[52:55]// 000000003260: D3F30034 1CD20D36
	v_mfma_f32_16x16x32_fp8_fp8 v[56:59], a[48:49], a[8:9], v[56:59]// 000000003268: D3F30038 1CE21130
	v_mfma_f32_16x16x32_fp8_fp8 v[56:59], a[50:51], a[10:11], v[56:59]// 000000003270: D3F30038 1CE21532
	buffer_load_dwordx4 a[68:71], v48, s[24:27], 0 offen offset:1024// 000000003278: E05C1400 80864430
	buffer_load_dword v42, s[20:23], 0 offen lds               // 000000003280: E0511000 8005002A
	s_add_u32 m0, 0x100, s50                                   // 000000003288: 807C32FF 00000100
	v_mfma_f32_16x16x32_fp8_fp8 v[56:59], a[52:53], a[12:13], v[56:59]// 000000003290: D3F30038 1CE21934
	v_mfma_f32_16x16x32_fp8_fp8 v[56:59], a[54:55], a[14:15], v[56:59]// 000000003298: D3F30038 1CE21D36
	buffer_load_dword v43, s[20:23], 0 offen lds               // 0000000032A0: E0511000 8005002B
	s_add_u32 m0, 0x200, s50                                   // 0000000032A8: 807C32FF 00000200
	v_mfma_f32_16x16x32_fp8_fp8 v[60:63], a[48:49], a[16:17], v[60:63]// 0000000032B0: D3F3003C 1CF22130
	v_mfma_f32_16x16x32_fp8_fp8 v[60:63], a[50:51], a[18:19], v[60:63]// 0000000032B8: D3F3003C 1CF22532
	buffer_load_dword v44, s[20:23], 0 offen lds               // 0000000032C0: E0511000 8005002C
	s_add_u32 m0, 0x300, s50                                   // 0000000032C8: 807C32FF 00000300
	v_mfma_f32_16x16x32_fp8_fp8 v[60:63], a[52:53], a[20:21], v[60:63]// 0000000032D0: D3F3003C 1CF22934
	v_mfma_f32_16x16x32_fp8_fp8 v[60:63], a[54:55], a[22:23], v[60:63]// 0000000032D8: D3F3003C 1CF22D36
	buffer_load_dword v45, s[20:23], 0 offen lds               // 0000000032E0: E0511000 8005002D
	s_add_u32 m0, 0x400, s50                                   // 0000000032E8: 807C32FF 00000400
	buffer_load_dword v46, s[20:23], 0 offen lds               // 0000000032F0: E0511000 8005002E
	s_add_u32 m0, 0x500, s50                                   // 0000000032F8: 807C32FF 00000500
	buffer_load_dword v47, s[20:23], 0 offen lds               // 000000003300: E0511000 8005002F
	s_add_u32 m0, 0, s48                                       // 000000003308: 807C3080
	s_waitcnt vmcnt(8)                                         // 00000000330C: BF8C0F78
	s_barrier                                                  // 000000003310: BF8A0000
	v_mfma_f32_16x16x32_fp8_fp8 v[64:67], a[56:57], a[0:1], v[64:67]// 000000003314: D3F30040 1D020138
	v_mfma_f32_16x16x32_fp8_fp8 v[64:67], a[58:59], a[2:3], v[64:67]// 00000000331C: D3F30040 1D02053A
	buffer_load_dwordx4 a[48:51], v48, s[84:87], 0 offen       // 000000003324: E05C1000 80953030
	v_mfma_f32_16x16x32_fp8_fp8 v[64:67], a[60:61], a[4:5], v[64:67]// 00000000332C: D3F30040 1D02093C
	v_mfma_f32_16x16x32_fp8_fp8 v[64:67], a[62:63], a[6:7], v[64:67]// 000000003334: D3F30040 1D020D3E
	ds_read_b128 a[24:27], v2 offset:6272                      // 00000000333C: DBFE1880 18000002
	ds_read_b128 a[28:31], v2 offset:6336                      // 000000003344: DBFE18C0 1C000002
	v_mfma_f32_16x16x32_fp8_fp8 v[68:71], a[56:57], a[8:9], v[68:71]// 00000000334C: D3F30044 1D121138
	s_add_u32 s60, 0x180, s80                                  // 000000003354: 803C50FF 00000180
	s_cmp_lt_u32 s60, s81                                      // 00000000335C: BF0A513C
	s_cselect_b32 s57, s57, 0                                  // 000000003360: 85398039
	v_mfma_f32_16x16x32_fp8_fp8 v[68:71], a[58:59], a[10:11], v[68:71]// 000000003364: D3F30044 1D12153A
	buffer_load_dwordx4 a[52:55], v48, s[84:87], 0 offen offset:1024// 00000000336C: E05C1400 80953430
	s_add_u32 s60, 0x100, s80                                  // 000000003374: 803C50FF 00000100
	s_cmp_lt_u32 s60, s81                                      // 00000000337C: BF0A513C
	s_cselect_b32 s58, s58, 0                                  // 000000003380: 853A803A
	v_mfma_f32_16x16x32_fp8_fp8 v[68:71], a[60:61], a[12:13], v[68:71]// 000000003384: D3F30044 1D12193C
	s_add_u32 s60, 0x100, s80                                  // 00000000338C: 803C50FF 00000100
	s_cmp_lt_u32 s60, s81                                      // 000000003394: BF0A513C
	s_cselect_b32 s83, s83, 0                                  // 000000003398: 85538053
	v_mfma_f32_16x16x32_fp8_fp8 v[68:71], a[62:63], a[14:15], v[68:71]// 00000000339C: D3F30044 1D121D3E
	ds_read_b128 a[32:35], v2 offset:6784                      // 0000000033A4: DBFE1A80 20000002
	ds_read_b128 a[36:39], v2 offset:6848                      // 0000000033AC: DBFE1AC0 24000002
	s_add_u32 s24, s58, s24                                    // 0000000033B4: 8018183A
	s_addc_u32 s25, 0, s25                                     // 0000000033B8: 82191980
	v_mfma_f32_16x16x32_fp8_fp8 v[72:75], a[56:57], a[16:17], v[72:75]// 0000000033BC: D3F30048 1D222138
	s_add_u32 s20, s57, s20                                    // 0000000033C4: 80141439
	s_addc_u32 s21, 0, s21                                     // 0000000033C8: 82151580
	v_mfma_f32_16x16x32_fp8_fp8 v[72:75], a[58:59], a[18:19], v[72:75]// 0000000033CC: D3F30048 1D22253A
	s_add_u32 s84, s83, s84                                    // 0000000033D4: 80545453
	s_addc_u32 s85, 0, s85                                     // 0000000033D8: 82555580
	v_mfma_f32_16x16x32_fp8_fp8 v[72:75], a[60:61], a[20:21], v[72:75]// 0000000033DC: D3F30048 1D22293C
	v_mfma_f32_16x16x32_fp8_fp8 v[72:75], a[62:63], a[22:23], v[72:75]// 0000000033E4: D3F30048 1D222D3E
	ds_read_b128 a[40:43], v2 offset:7296                      // 0000000033EC: DBFE1C80 28000002
	ds_read_b128 a[44:47], v2 offset:7360                      // 0000000033F4: DBFE1CC0 2C000002
	s_addk_i32 s80, 0x80                                       // 0000000033FC: B7500080
	s_cmp_lt_i32 s80, s81                                      // 000000003400: BF045150
	s_cbranch_scc0 label_04C2                                  // 000000003404: BF840240
	s_waitcnt vmcnt(8) lgkmcnt(0)                              // 000000003408: BF8C0078
	v_mfma_f32_16x16x32_fp8_fp8 v[52:55], a[64:65], a[24:25], v[52:55]// 00000000340C: D3F30034 1CD23140
	v_mfma_f32_16x16x32_fp8_fp8 v[52:55], a[66:67], a[26:27], v[52:55]// 000000003414: D3F30034 1CD23542
	buffer_load_dwordx4 a[56:59], v48, s[24:27], 0 offen       // 00000000341C: E05C1000 80863830
	v_mfma_f32_16x16x32_fp8_fp8 v[52:55], a[68:69], a[28:29], v[52:55]// 000000003424: D3F30034 1CD23944
	v_mfma_f32_16x16x32_fp8_fp8 v[52:55], a[70:71], a[30:31], v[52:55]// 00000000342C: D3F30034 1CD23D46
	v_mfma_f32_16x16x32_fp8_fp8 v[56:59], a[64:65], a[32:33], v[56:59]// 000000003434: D3F30038 1CE24140
	v_mfma_f32_16x16x32_fp8_fp8 v[56:59], a[66:67], a[34:35], v[56:59]// 00000000343C: D3F30038 1CE24542
	buffer_load_dwordx4 a[60:63], v48, s[24:27], 0 offen offset:1024// 000000003444: E05C1400 80863C30
	buffer_load_dword v42, s[20:23], 0 offen lds               // 00000000344C: E0511000 8005002A
	s_add_u32 m0, 0x100, s48                                   // 000000003454: 807C30FF 00000100
	v_mfma_f32_16x16x32_fp8_fp8 v[56:59], a[68:69], a[36:37], v[56:59]// 00000000345C: D3F30038 1CE24944
	v_mfma_f32_16x16x32_fp8_fp8 v[56:59], a[70:71], a[38:39], v[56:59]// 000000003464: D3F30038 1CE24D46
	buffer_load_dword v43, s[20:23], 0 offen lds               // 00000000346C: E0511000 8005002B
	s_add_u32 m0, 0x200, s48                                   // 000000003474: 807C30FF 00000200
	v_mfma_f32_16x16x32_fp8_fp8 v[60:63], a[64:65], a[40:41], v[60:63]// 00000000347C: D3F3003C 1CF25140
	v_mfma_f32_16x16x32_fp8_fp8 v[60:63], a[66:67], a[42:43], v[60:63]// 000000003484: D3F3003C 1CF25542
	buffer_load_dword v44, s[20:23], 0 offen lds               // 00000000348C: E0511000 8005002C
	s_add_u32 m0, 0x300, s48                                   // 000000003494: 807C30FF 00000300
	v_mfma_f32_16x16x32_fp8_fp8 v[60:63], a[68:69], a[44:45], v[60:63]// 00000000349C: D3F3003C 1CF25944
	v_mfma_f32_16x16x32_fp8_fp8 v[60:63], a[70:71], a[46:47], v[60:63]// 0000000034A4: D3F3003C 1CF25D46
	buffer_load_dword v45, s[20:23], 0 offen lds               // 0000000034AC: E0511000 8005002D
	s_add_u32 m0, 0x400, s48                                   // 0000000034B4: 807C30FF 00000400
	buffer_load_dword v46, s[20:23], 0 offen lds               // 0000000034BC: E0511000 8005002E
	s_add_u32 m0, 0x500, s48                                   // 0000000034C4: 807C30FF 00000500
	buffer_load_dword v47, s[20:23], 0 offen lds               // 0000000034CC: E0511000 8005002F
	s_add_u32 m0, 0, s49                                       // 0000000034D4: 807C3180
	s_waitcnt vmcnt(8)                                         // 0000000034D8: BF8C0F78
	s_barrier                                                  // 0000000034DC: BF8A0000
	v_mfma_f32_16x16x32_fp8_fp8 v[64:67], a[48:49], a[24:25], v[64:67]// 0000000034E0: D3F30040 1D023130
	v_mfma_f32_16x16x32_fp8_fp8 v[64:67], a[50:51], a[26:27], v[64:67]// 0000000034E8: D3F30040 1D023532
	buffer_load_dwordx4 a[64:67], v48, s[84:87], 0 offen       // 0000000034F0: E05C1000 80954030
	v_mfma_f32_16x16x32_fp8_fp8 v[64:67], a[52:53], a[28:29], v[64:67]// 0000000034F8: D3F30040 1D023934
	v_mfma_f32_16x16x32_fp8_fp8 v[64:67], a[54:55], a[30:31], v[64:67]// 000000003500: D3F30040 1D023D36
	ds_read_b128 a[0:3], v2 offset:12544                       // 000000003508: DBFE3100 00000002
	ds_read_b128 a[4:7], v2 offset:12608                       // 000000003510: DBFE3140 04000002
	v_mfma_f32_16x16x32_fp8_fp8 v[68:71], a[48:49], a[32:33], v[68:71]// 000000003518: D3F30044 1D124130
	s_add_u32 s60, 0x180, s80                                  // 000000003520: 803C50FF 00000180
	s_cmp_lt_u32 s60, s81                                      // 000000003528: BF0A513C
	s_cselect_b32 s57, s57, 0                                  // 00000000352C: 85398039
	v_mfma_f32_16x16x32_fp8_fp8 v[68:71], a[50:51], a[34:35], v[68:71]// 000000003530: D3F30044 1D124532
	buffer_load_dwordx4 a[68:71], v48, s[84:87], 0 offen offset:1024// 000000003538: E05C1400 80954430
	s_add_u32 s60, 0x100, s80                                  // 000000003540: 803C50FF 00000100
	s_cmp_lt_u32 s60, s81                                      // 000000003548: BF0A513C
	s_cselect_b32 s58, s58, 0                                  // 00000000354C: 853A803A
	v_mfma_f32_16x16x32_fp8_fp8 v[68:71], a[52:53], a[36:37], v[68:71]// 000000003550: D3F30044 1D124934
	s_add_u32 s60, 0x100, s80                                  // 000000003558: 803C50FF 00000100
	s_cmp_lt_u32 s60, s81                                      // 000000003560: BF0A513C
	s_cselect_b32 s83, s83, 0                                  // 000000003564: 85538053
	v_mfma_f32_16x16x32_fp8_fp8 v[68:71], a[54:55], a[38:39], v[68:71]// 000000003568: D3F30044 1D124D36
	ds_read_b128 a[8:11], v2 offset:13056                      // 000000003570: DBFE3300 08000002
	ds_read_b128 a[12:15], v2 offset:13120                     // 000000003578: DBFE3340 0C000002
	s_add_u32 s24, s58, s24                                    // 000000003580: 8018183A
	s_addc_u32 s25, 0, s25                                     // 000000003584: 82191980
	v_mfma_f32_16x16x32_fp8_fp8 v[72:75], a[48:49], a[40:41], v[72:75]// 000000003588: D3F30048 1D225130
	s_add_u32 s20, s57, s20                                    // 000000003590: 80141439
	s_addc_u32 s21, 0, s21                                     // 000000003594: 82151580
	v_mfma_f32_16x16x32_fp8_fp8 v[72:75], a[50:51], a[42:43], v[72:75]// 000000003598: D3F30048 1D225532
	s_add_u32 s84, s83, s84                                    // 0000000035A0: 80545453
	s_addc_u32 s85, 0, s85                                     // 0000000035A4: 82555580
	v_mfma_f32_16x16x32_fp8_fp8 v[72:75], a[52:53], a[44:45], v[72:75]// 0000000035A8: D3F30048 1D225934
	v_mfma_f32_16x16x32_fp8_fp8 v[72:75], a[54:55], a[46:47], v[72:75]// 0000000035B0: D3F30048 1D225D36
	ds_read_b128 a[16:19], v2 offset:13568                     // 0000000035B8: DBFE3500 10000002
	ds_read_b128 a[20:23], v2 offset:13632                     // 0000000035C0: DBFE3540 14000002
	s_addk_i32 s80, 0x80                                       // 0000000035C8: B7500080
	s_cmp_lt_i32 s80, s81                                      // 0000000035CC: BF045150
	s_cbranch_scc0 label_04C2                                  // 0000000035D0: BF8401CD
	s_waitcnt vmcnt(8) lgkmcnt(0)                              // 0000000035D4: BF8C0078
	v_mfma_f32_16x16x32_fp8_fp8 v[52:55], a[56:57], a[0:1], v[52:55]// 0000000035D8: D3F30034 1CD20138
	v_mfma_f32_16x16x32_fp8_fp8 v[52:55], a[58:59], a[2:3], v[52:55]// 0000000035E0: D3F30034 1CD2053A
	buffer_load_dwordx4 a[48:51], v48, s[24:27], 0 offen       // 0000000035E8: E05C1000 80863030
	v_mfma_f32_16x16x32_fp8_fp8 v[52:55], a[60:61], a[4:5], v[52:55]// 0000000035F0: D3F30034 1CD2093C
	v_mfma_f32_16x16x32_fp8_fp8 v[52:55], a[62:63], a[6:7], v[52:55]// 0000000035F8: D3F30034 1CD20D3E
	v_mfma_f32_16x16x32_fp8_fp8 v[56:59], a[56:57], a[8:9], v[56:59]// 000000003600: D3F30038 1CE21138
	v_mfma_f32_16x16x32_fp8_fp8 v[56:59], a[58:59], a[10:11], v[56:59]// 000000003608: D3F30038 1CE2153A
	buffer_load_dwordx4 a[52:55], v48, s[24:27], 0 offen offset:1024// 000000003610: E05C1400 80863430
	buffer_load_dword v42, s[20:23], 0 offen lds               // 000000003618: E0511000 8005002A
	s_add_u32 m0, 0x100, s49                                   // 000000003620: 807C31FF 00000100
	v_mfma_f32_16x16x32_fp8_fp8 v[56:59], a[60:61], a[12:13], v[56:59]// 000000003628: D3F30038 1CE2193C
	v_mfma_f32_16x16x32_fp8_fp8 v[56:59], a[62:63], a[14:15], v[56:59]// 000000003630: D3F30038 1CE21D3E
	buffer_load_dword v43, s[20:23], 0 offen lds               // 000000003638: E0511000 8005002B
	s_add_u32 m0, 0x200, s49                                   // 000000003640: 807C31FF 00000200
	v_mfma_f32_16x16x32_fp8_fp8 v[60:63], a[56:57], a[16:17], v[60:63]// 000000003648: D3F3003C 1CF22138
	v_mfma_f32_16x16x32_fp8_fp8 v[60:63], a[58:59], a[18:19], v[60:63]// 000000003650: D3F3003C 1CF2253A
	buffer_load_dword v44, s[20:23], 0 offen lds               // 000000003658: E0511000 8005002C
	s_add_u32 m0, 0x300, s49                                   // 000000003660: 807C31FF 00000300
	v_mfma_f32_16x16x32_fp8_fp8 v[60:63], a[60:61], a[20:21], v[60:63]// 000000003668: D3F3003C 1CF2293C
	v_mfma_f32_16x16x32_fp8_fp8 v[60:63], a[62:63], a[22:23], v[60:63]// 000000003670: D3F3003C 1CF22D3E
	buffer_load_dword v45, s[20:23], 0 offen lds               // 000000003678: E0511000 8005002D
	s_add_u32 m0, 0x400, s49                                   // 000000003680: 807C31FF 00000400
	buffer_load_dword v46, s[20:23], 0 offen lds               // 000000003688: E0511000 8005002E
	s_add_u32 m0, 0x500, s49                                   // 000000003690: 807C31FF 00000500
	buffer_load_dword v47, s[20:23], 0 offen lds               // 000000003698: E0511000 8005002F
	s_add_u32 m0, 0, s50                                       // 0000000036A0: 807C3280
	s_waitcnt vmcnt(8)                                         // 0000000036A4: BF8C0F78
	s_barrier                                                  // 0000000036A8: BF8A0000
	v_mfma_f32_16x16x32_fp8_fp8 v[64:67], a[64:65], a[0:1], v[64:67]// 0000000036AC: D3F30040 1D020140
	v_mfma_f32_16x16x32_fp8_fp8 v[64:67], a[66:67], a[2:3], v[64:67]// 0000000036B4: D3F30040 1D020542
	buffer_load_dwordx4 a[56:59], v48, s[84:87], 0 offen       // 0000000036BC: E05C1000 80953830
	v_mfma_f32_16x16x32_fp8_fp8 v[64:67], a[68:69], a[4:5], v[64:67]// 0000000036C4: D3F30040 1D020944
	v_mfma_f32_16x16x32_fp8_fp8 v[64:67], a[70:71], a[6:7], v[64:67]// 0000000036CC: D3F30040 1D020D46
	ds_read_b128 a[24:27], v2                                  // 0000000036D4: DBFE0000 18000002
	ds_read_b128 a[28:31], v2 offset:64                        // 0000000036DC: DBFE0040 1C000002
	v_mfma_f32_16x16x32_fp8_fp8 v[68:71], a[64:65], a[8:9], v[68:71]// 0000000036E4: D3F30044 1D121140
	s_add_u32 s60, 0x180, s80                                  // 0000000036EC: 803C50FF 00000180
	s_cmp_lt_u32 s60, s81                                      // 0000000036F4: BF0A513C
	s_cselect_b32 s57, s57, 0                                  // 0000000036F8: 85398039
	v_mfma_f32_16x16x32_fp8_fp8 v[68:71], a[66:67], a[10:11], v[68:71]// 0000000036FC: D3F30044 1D121542
	buffer_load_dwordx4 a[60:63], v48, s[84:87], 0 offen offset:1024// 000000003704: E05C1400 80953C30
	s_add_u32 s60, 0x100, s80                                  // 00000000370C: 803C50FF 00000100
	s_cmp_lt_u32 s60, s81                                      // 000000003714: BF0A513C
	s_cselect_b32 s58, s58, 0                                  // 000000003718: 853A803A
	v_mfma_f32_16x16x32_fp8_fp8 v[68:71], a[68:69], a[12:13], v[68:71]// 00000000371C: D3F30044 1D121944
	s_add_u32 s60, 0x100, s80                                  // 000000003724: 803C50FF 00000100
	s_cmp_lt_u32 s60, s81                                      // 00000000372C: BF0A513C
	s_cselect_b32 s83, s83, 0                                  // 000000003730: 85538053
	v_mfma_f32_16x16x32_fp8_fp8 v[68:71], a[70:71], a[14:15], v[68:71]// 000000003734: D3F30044 1D121D46
	ds_read_b128 a[32:35], v2 offset:512                       // 00000000373C: DBFE0200 20000002
	ds_read_b128 a[36:39], v2 offset:576                       // 000000003744: DBFE0240 24000002
	s_add_u32 s24, s58, s24                                    // 00000000374C: 8018183A
	s_addc_u32 s25, 0, s25                                     // 000000003750: 82191980
	v_mfma_f32_16x16x32_fp8_fp8 v[72:75], a[64:65], a[16:17], v[72:75]// 000000003754: D3F30048 1D222140
	s_add_u32 s20, s57, s20                                    // 00000000375C: 80141439
	s_addc_u32 s21, 0, s21                                     // 000000003760: 82151580
	v_mfma_f32_16x16x32_fp8_fp8 v[72:75], a[66:67], a[18:19], v[72:75]// 000000003764: D3F30048 1D222542
	s_add_u32 s84, s83, s84                                    // 00000000376C: 80545453
	s_addc_u32 s85, 0, s85                                     // 000000003770: 82555580
	v_mfma_f32_16x16x32_fp8_fp8 v[72:75], a[68:69], a[20:21], v[72:75]// 000000003774: D3F30048 1D222944
	v_mfma_f32_16x16x32_fp8_fp8 v[72:75], a[70:71], a[22:23], v[72:75]// 00000000377C: D3F30048 1D222D46
	ds_read_b128 a[40:43], v2 offset:1024                      // 000000003784: DBFE0400 28000002
	ds_read_b128 a[44:47], v2 offset:1088                      // 00000000378C: DBFE0440 2C000002
	s_addk_i32 s80, 0x80                                       // 000000003794: B7500080
	s_cmp_lt_i32 s80, s81                                      // 000000003798: BF045150
	s_cbranch_scc0 label_04C2                                  // 00000000379C: BF84015A
	s_waitcnt vmcnt(8) lgkmcnt(0)                              // 0000000037A0: BF8C0078
	v_mfma_f32_16x16x32_fp8_fp8 v[52:55], a[48:49], a[24:25], v[52:55]// 0000000037A4: D3F30034 1CD23130
	v_mfma_f32_16x16x32_fp8_fp8 v[52:55], a[50:51], a[26:27], v[52:55]// 0000000037AC: D3F30034 1CD23532
	buffer_load_dwordx4 a[64:67], v48, s[24:27], 0 offen       // 0000000037B4: E05C1000 80864030
	v_mfma_f32_16x16x32_fp8_fp8 v[52:55], a[52:53], a[28:29], v[52:55]// 0000000037BC: D3F30034 1CD23934
	v_mfma_f32_16x16x32_fp8_fp8 v[52:55], a[54:55], a[30:31], v[52:55]// 0000000037C4: D3F30034 1CD23D36
	v_mfma_f32_16x16x32_fp8_fp8 v[56:59], a[48:49], a[32:33], v[56:59]// 0000000037CC: D3F30038 1CE24130
	v_mfma_f32_16x16x32_fp8_fp8 v[56:59], a[50:51], a[34:35], v[56:59]// 0000000037D4: D3F30038 1CE24532
	buffer_load_dwordx4 a[68:71], v48, s[24:27], 0 offen offset:1024// 0000000037DC: E05C1400 80864430
	buffer_load_dword v42, s[20:23], 0 offen lds               // 0000000037E4: E0511000 8005002A
	s_add_u32 m0, 0x100, s50                                   // 0000000037EC: 807C32FF 00000100
	v_mfma_f32_16x16x32_fp8_fp8 v[56:59], a[52:53], a[36:37], v[56:59]// 0000000037F4: D3F30038 1CE24934
	v_mfma_f32_16x16x32_fp8_fp8 v[56:59], a[54:55], a[38:39], v[56:59]// 0000000037FC: D3F30038 1CE24D36
	buffer_load_dword v43, s[20:23], 0 offen lds               // 000000003804: E0511000 8005002B
	s_add_u32 m0, 0x200, s50                                   // 00000000380C: 807C32FF 00000200
	v_mfma_f32_16x16x32_fp8_fp8 v[60:63], a[48:49], a[40:41], v[60:63]// 000000003814: D3F3003C 1CF25130
	v_mfma_f32_16x16x32_fp8_fp8 v[60:63], a[50:51], a[42:43], v[60:63]// 00000000381C: D3F3003C 1CF25532
	buffer_load_dword v44, s[20:23], 0 offen lds               // 000000003824: E0511000 8005002C
	s_add_u32 m0, 0x300, s50                                   // 00000000382C: 807C32FF 00000300
	v_mfma_f32_16x16x32_fp8_fp8 v[60:63], a[52:53], a[44:45], v[60:63]// 000000003834: D3F3003C 1CF25934
	v_mfma_f32_16x16x32_fp8_fp8 v[60:63], a[54:55], a[46:47], v[60:63]// 00000000383C: D3F3003C 1CF25D36
	buffer_load_dword v45, s[20:23], 0 offen lds               // 000000003844: E0511000 8005002D
	s_add_u32 m0, 0x400, s50                                   // 00000000384C: 807C32FF 00000400
	buffer_load_dword v46, s[20:23], 0 offen lds               // 000000003854: E0511000 8005002E
	s_add_u32 m0, 0x500, s50                                   // 00000000385C: 807C32FF 00000500
	buffer_load_dword v47, s[20:23], 0 offen lds               // 000000003864: E0511000 8005002F
	s_add_u32 m0, 0, s48                                       // 00000000386C: 807C3080
	s_waitcnt vmcnt(8)                                         // 000000003870: BF8C0F78
	s_barrier                                                  // 000000003874: BF8A0000
	v_mfma_f32_16x16x32_fp8_fp8 v[64:67], a[56:57], a[24:25], v[64:67]// 000000003878: D3F30040 1D023138
	v_mfma_f32_16x16x32_fp8_fp8 v[64:67], a[58:59], a[26:27], v[64:67]// 000000003880: D3F30040 1D02353A
	buffer_load_dwordx4 a[48:51], v48, s[84:87], 0 offen       // 000000003888: E05C1000 80953030
	v_mfma_f32_16x16x32_fp8_fp8 v[64:67], a[60:61], a[28:29], v[64:67]// 000000003890: D3F30040 1D02393C
	v_mfma_f32_16x16x32_fp8_fp8 v[64:67], a[62:63], a[30:31], v[64:67]// 000000003898: D3F30040 1D023D3E
	ds_read_b128 a[0:3], v2 offset:6272                        // 0000000038A0: DBFE1880 00000002
	ds_read_b128 a[4:7], v2 offset:6336                        // 0000000038A8: DBFE18C0 04000002
	v_mfma_f32_16x16x32_fp8_fp8 v[68:71], a[56:57], a[32:33], v[68:71]// 0000000038B0: D3F30044 1D124138
	s_add_u32 s60, 0x180, s80                                  // 0000000038B8: 803C50FF 00000180
	s_cmp_lt_u32 s60, s81                                      // 0000000038C0: BF0A513C
	s_cselect_b32 s57, s57, 0                                  // 0000000038C4: 85398039
	v_mfma_f32_16x16x32_fp8_fp8 v[68:71], a[58:59], a[34:35], v[68:71]// 0000000038C8: D3F30044 1D12453A
	buffer_load_dwordx4 a[52:55], v48, s[84:87], 0 offen offset:1024// 0000000038D0: E05C1400 80953430
	s_add_u32 s60, 0x100, s80                                  // 0000000038D8: 803C50FF 00000100
	s_cmp_lt_u32 s60, s81                                      // 0000000038E0: BF0A513C
	s_cselect_b32 s58, s58, 0                                  // 0000000038E4: 853A803A
	v_mfma_f32_16x16x32_fp8_fp8 v[68:71], a[60:61], a[36:37], v[68:71]// 0000000038E8: D3F30044 1D12493C
	s_add_u32 s60, 0x100, s80                                  // 0000000038F0: 803C50FF 00000100
	s_cmp_lt_u32 s60, s81                                      // 0000000038F8: BF0A513C
	s_cselect_b32 s83, s83, 0                                  // 0000000038FC: 85538053
	v_mfma_f32_16x16x32_fp8_fp8 v[68:71], a[62:63], a[38:39], v[68:71]// 000000003900: D3F30044 1D124D3E
	ds_read_b128 a[8:11], v2 offset:6784                       // 000000003908: DBFE1A80 08000002
	ds_read_b128 a[12:15], v2 offset:6848                      // 000000003910: DBFE1AC0 0C000002
	s_add_u32 s24, s58, s24                                    // 000000003918: 8018183A
	s_addc_u32 s25, 0, s25                                     // 00000000391C: 82191980
	v_mfma_f32_16x16x32_fp8_fp8 v[72:75], a[56:57], a[40:41], v[72:75]// 000000003920: D3F30048 1D225138
	s_add_u32 s20, s57, s20                                    // 000000003928: 80141439
	s_addc_u32 s21, 0, s21                                     // 00000000392C: 82151580
	v_mfma_f32_16x16x32_fp8_fp8 v[72:75], a[58:59], a[42:43], v[72:75]// 000000003930: D3F30048 1D22553A
	s_add_u32 s84, s83, s84                                    // 000000003938: 80545453
	s_addc_u32 s85, 0, s85                                     // 00000000393C: 82555580
	v_mfma_f32_16x16x32_fp8_fp8 v[72:75], a[60:61], a[44:45], v[72:75]// 000000003940: D3F30048 1D22593C
	v_mfma_f32_16x16x32_fp8_fp8 v[72:75], a[62:63], a[46:47], v[72:75]// 000000003948: D3F30048 1D225D3E
	ds_read_b128 a[16:19], v2 offset:7296                      // 000000003950: DBFE1C80 10000002
	ds_read_b128 a[20:23], v2 offset:7360                      // 000000003958: DBFE1CC0 14000002
	s_addk_i32 s80, 0x80                                       // 000000003960: B7500080
	s_cmp_lt_i32 s80, s81                                      // 000000003964: BF045150
	s_cbranch_scc0 label_04C2                                  // 000000003968: BF8400E7
	s_waitcnt vmcnt(8) lgkmcnt(0)                              // 00000000396C: BF8C0078
	v_mfma_f32_16x16x32_fp8_fp8 v[52:55], a[64:65], a[0:1], v[52:55]// 000000003970: D3F30034 1CD20140
	v_mfma_f32_16x16x32_fp8_fp8 v[52:55], a[66:67], a[2:3], v[52:55]// 000000003978: D3F30034 1CD20542
	buffer_load_dwordx4 a[56:59], v48, s[24:27], 0 offen       // 000000003980: E05C1000 80863830
	v_mfma_f32_16x16x32_fp8_fp8 v[52:55], a[68:69], a[4:5], v[52:55]// 000000003988: D3F30034 1CD20944
	v_mfma_f32_16x16x32_fp8_fp8 v[52:55], a[70:71], a[6:7], v[52:55]// 000000003990: D3F30034 1CD20D46
	v_mfma_f32_16x16x32_fp8_fp8 v[56:59], a[64:65], a[8:9], v[56:59]// 000000003998: D3F30038 1CE21140
	v_mfma_f32_16x16x32_fp8_fp8 v[56:59], a[66:67], a[10:11], v[56:59]// 0000000039A0: D3F30038 1CE21542
	buffer_load_dwordx4 a[60:63], v48, s[24:27], 0 offen offset:1024// 0000000039A8: E05C1400 80863C30
	buffer_load_dword v42, s[20:23], 0 offen lds               // 0000000039B0: E0511000 8005002A
	s_add_u32 m0, 0x100, s48                                   // 0000000039B8: 807C30FF 00000100
	v_mfma_f32_16x16x32_fp8_fp8 v[56:59], a[68:69], a[12:13], v[56:59]// 0000000039C0: D3F30038 1CE21944
	v_mfma_f32_16x16x32_fp8_fp8 v[56:59], a[70:71], a[14:15], v[56:59]// 0000000039C8: D3F30038 1CE21D46
	buffer_load_dword v43, s[20:23], 0 offen lds               // 0000000039D0: E0511000 8005002B
	s_add_u32 m0, 0x200, s48                                   // 0000000039D8: 807C30FF 00000200
	v_mfma_f32_16x16x32_fp8_fp8 v[60:63], a[64:65], a[16:17], v[60:63]// 0000000039E0: D3F3003C 1CF22140
	v_mfma_f32_16x16x32_fp8_fp8 v[60:63], a[66:67], a[18:19], v[60:63]// 0000000039E8: D3F3003C 1CF22542
	buffer_load_dword v44, s[20:23], 0 offen lds               // 0000000039F0: E0511000 8005002C
	s_add_u32 m0, 0x300, s48                                   // 0000000039F8: 807C30FF 00000300
	v_mfma_f32_16x16x32_fp8_fp8 v[60:63], a[68:69], a[20:21], v[60:63]// 000000003A00: D3F3003C 1CF22944
	v_mfma_f32_16x16x32_fp8_fp8 v[60:63], a[70:71], a[22:23], v[60:63]// 000000003A08: D3F3003C 1CF22D46
	buffer_load_dword v45, s[20:23], 0 offen lds               // 000000003A10: E0511000 8005002D
	s_add_u32 m0, 0x400, s48                                   // 000000003A18: 807C30FF 00000400
	buffer_load_dword v46, s[20:23], 0 offen lds               // 000000003A20: E0511000 8005002E
	s_add_u32 m0, 0x500, s48                                   // 000000003A28: 807C30FF 00000500
	buffer_load_dword v47, s[20:23], 0 offen lds               // 000000003A30: E0511000 8005002F
	s_add_u32 m0, 0, s49                                       // 000000003A38: 807C3180
	s_waitcnt vmcnt(8)                                         // 000000003A3C: BF8C0F78
	s_barrier                                                  // 000000003A40: BF8A0000
	v_mfma_f32_16x16x32_fp8_fp8 v[64:67], a[48:49], a[0:1], v[64:67]// 000000003A44: D3F30040 1D020130
	v_mfma_f32_16x16x32_fp8_fp8 v[64:67], a[50:51], a[2:3], v[64:67]// 000000003A4C: D3F30040 1D020532
	buffer_load_dwordx4 a[64:67], v48, s[84:87], 0 offen       // 000000003A54: E05C1000 80954030
	v_mfma_f32_16x16x32_fp8_fp8 v[64:67], a[52:53], a[4:5], v[64:67]// 000000003A5C: D3F30040 1D020934
	v_mfma_f32_16x16x32_fp8_fp8 v[64:67], a[54:55], a[6:7], v[64:67]// 000000003A64: D3F30040 1D020D36
	ds_read_b128 a[24:27], v2 offset:12544                     // 000000003A6C: DBFE3100 18000002
	ds_read_b128 a[28:31], v2 offset:12608                     // 000000003A74: DBFE3140 1C000002
	v_mfma_f32_16x16x32_fp8_fp8 v[68:71], a[48:49], a[8:9], v[68:71]// 000000003A7C: D3F30044 1D121130
	s_add_u32 s60, 0x180, s80                                  // 000000003A84: 803C50FF 00000180
	s_cmp_lt_u32 s60, s81                                      // 000000003A8C: BF0A513C
	s_cselect_b32 s57, s57, 0                                  // 000000003A90: 85398039
	v_mfma_f32_16x16x32_fp8_fp8 v[68:71], a[50:51], a[10:11], v[68:71]// 000000003A94: D3F30044 1D121532
	buffer_load_dwordx4 a[68:71], v48, s[84:87], 0 offen offset:1024// 000000003A9C: E05C1400 80954430
	s_add_u32 s60, 0x100, s80                                  // 000000003AA4: 803C50FF 00000100
	s_cmp_lt_u32 s60, s81                                      // 000000003AAC: BF0A513C
	s_cselect_b32 s58, s58, 0                                  // 000000003AB0: 853A803A
	v_mfma_f32_16x16x32_fp8_fp8 v[68:71], a[52:53], a[12:13], v[68:71]// 000000003AB4: D3F30044 1D121934
	s_add_u32 s60, 0x100, s80                                  // 000000003ABC: 803C50FF 00000100
	s_cmp_lt_u32 s60, s81                                      // 000000003AC4: BF0A513C
	s_cselect_b32 s83, s83, 0                                  // 000000003AC8: 85538053
	v_mfma_f32_16x16x32_fp8_fp8 v[68:71], a[54:55], a[14:15], v[68:71]// 000000003ACC: D3F30044 1D121D36
	ds_read_b128 a[32:35], v2 offset:13056                     // 000000003AD4: DBFE3300 20000002
	ds_read_b128 a[36:39], v2 offset:13120                     // 000000003ADC: DBFE3340 24000002
	s_add_u32 s24, s58, s24                                    // 000000003AE4: 8018183A
	s_addc_u32 s25, 0, s25                                     // 000000003AE8: 82191980
	v_mfma_f32_16x16x32_fp8_fp8 v[72:75], a[48:49], a[16:17], v[72:75]// 000000003AEC: D3F30048 1D222130
	s_add_u32 s20, s57, s20                                    // 000000003AF4: 80141439
	s_addc_u32 s21, 0, s21                                     // 000000003AF8: 82151580
	v_mfma_f32_16x16x32_fp8_fp8 v[72:75], a[50:51], a[18:19], v[72:75]// 000000003AFC: D3F30048 1D222532
	s_add_u32 s84, s83, s84                                    // 000000003B04: 80545453
	s_addc_u32 s85, 0, s85                                     // 000000003B08: 82555580
	v_mfma_f32_16x16x32_fp8_fp8 v[72:75], a[52:53], a[20:21], v[72:75]// 000000003B0C: D3F30048 1D222934
	v_mfma_f32_16x16x32_fp8_fp8 v[72:75], a[54:55], a[22:23], v[72:75]// 000000003B14: D3F30048 1D222D36
	ds_read_b128 a[40:43], v2 offset:13568                     // 000000003B1C: DBFE3500 28000002
	ds_read_b128 a[44:47], v2 offset:13632                     // 000000003B24: DBFE3540 2C000002
	s_addk_i32 s80, 0x80                                       // 000000003B2C: B7500080
	s_cmp_lt_i32 s80, s81                                      // 000000003B30: BF045150
	s_cbranch_scc0 label_04C2                                  // 000000003B34: BF840074
	s_waitcnt vmcnt(8) lgkmcnt(0)                              // 000000003B38: BF8C0078
	v_mfma_f32_16x16x32_fp8_fp8 v[52:55], a[56:57], a[24:25], v[52:55]// 000000003B3C: D3F30034 1CD23138
	v_mfma_f32_16x16x32_fp8_fp8 v[52:55], a[58:59], a[26:27], v[52:55]// 000000003B44: D3F30034 1CD2353A
	buffer_load_dwordx4 a[48:51], v48, s[24:27], 0 offen       // 000000003B4C: E05C1000 80863030
	v_mfma_f32_16x16x32_fp8_fp8 v[52:55], a[60:61], a[28:29], v[52:55]// 000000003B54: D3F30034 1CD2393C
	v_mfma_f32_16x16x32_fp8_fp8 v[52:55], a[62:63], a[30:31], v[52:55]// 000000003B5C: D3F30034 1CD23D3E
	v_mfma_f32_16x16x32_fp8_fp8 v[56:59], a[56:57], a[32:33], v[56:59]// 000000003B64: D3F30038 1CE24138
	v_mfma_f32_16x16x32_fp8_fp8 v[56:59], a[58:59], a[34:35], v[56:59]// 000000003B6C: D3F30038 1CE2453A
	buffer_load_dwordx4 a[52:55], v48, s[24:27], 0 offen offset:1024// 000000003B74: E05C1400 80863430
	buffer_load_dword v42, s[20:23], 0 offen lds               // 000000003B7C: E0511000 8005002A
	s_add_u32 m0, 0x100, s49                                   // 000000003B84: 807C31FF 00000100
	v_mfma_f32_16x16x32_fp8_fp8 v[56:59], a[60:61], a[36:37], v[56:59]// 000000003B8C: D3F30038 1CE2493C
	v_mfma_f32_16x16x32_fp8_fp8 v[56:59], a[62:63], a[38:39], v[56:59]// 000000003B94: D3F30038 1CE24D3E
	buffer_load_dword v43, s[20:23], 0 offen lds               // 000000003B9C: E0511000 8005002B
	s_add_u32 m0, 0x200, s49                                   // 000000003BA4: 807C31FF 00000200
	v_mfma_f32_16x16x32_fp8_fp8 v[60:63], a[56:57], a[40:41], v[60:63]// 000000003BAC: D3F3003C 1CF25138
	v_mfma_f32_16x16x32_fp8_fp8 v[60:63], a[58:59], a[42:43], v[60:63]// 000000003BB4: D3F3003C 1CF2553A
	buffer_load_dword v44, s[20:23], 0 offen lds               // 000000003BBC: E0511000 8005002C
	s_add_u32 m0, 0x300, s49                                   // 000000003BC4: 807C31FF 00000300
	v_mfma_f32_16x16x32_fp8_fp8 v[60:63], a[60:61], a[44:45], v[60:63]// 000000003BCC: D3F3003C 1CF2593C
	v_mfma_f32_16x16x32_fp8_fp8 v[60:63], a[62:63], a[46:47], v[60:63]// 000000003BD4: D3F3003C 1CF25D3E
	buffer_load_dword v45, s[20:23], 0 offen lds               // 000000003BDC: E0511000 8005002D
	s_add_u32 m0, 0x400, s49                                   // 000000003BE4: 807C31FF 00000400
	buffer_load_dword v46, s[20:23], 0 offen lds               // 000000003BEC: E0511000 8005002E
	s_add_u32 m0, 0x500, s49                                   // 000000003BF4: 807C31FF 00000500
	buffer_load_dword v47, s[20:23], 0 offen lds               // 000000003BFC: E0511000 8005002F
	s_add_u32 m0, 0, s50                                       // 000000003C04: 807C3280
	s_waitcnt vmcnt(8)                                         // 000000003C08: BF8C0F78
	s_barrier                                                  // 000000003C0C: BF8A0000
	v_mfma_f32_16x16x32_fp8_fp8 v[64:67], a[64:65], a[24:25], v[64:67]// 000000003C10: D3F30040 1D023140
	v_mfma_f32_16x16x32_fp8_fp8 v[64:67], a[66:67], a[26:27], v[64:67]// 000000003C18: D3F30040 1D023542
	buffer_load_dwordx4 a[56:59], v48, s[84:87], 0 offen       // 000000003C20: E05C1000 80953830
	v_mfma_f32_16x16x32_fp8_fp8 v[64:67], a[68:69], a[28:29], v[64:67]// 000000003C28: D3F30040 1D023944
	v_mfma_f32_16x16x32_fp8_fp8 v[64:67], a[70:71], a[30:31], v[64:67]// 000000003C30: D3F30040 1D023D46
	ds_read_b128 a[0:3], v2                                    // 000000003C38: DBFE0000 00000002
	ds_read_b128 a[4:7], v2 offset:64                          // 000000003C40: DBFE0040 04000002
	v_mfma_f32_16x16x32_fp8_fp8 v[68:71], a[64:65], a[32:33], v[68:71]// 000000003C48: D3F30044 1D124140
	s_add_u32 s60, 0x180, s80                                  // 000000003C50: 803C50FF 00000180
	s_cmp_lt_u32 s60, s81                                      // 000000003C58: BF0A513C
	s_cselect_b32 s57, s57, 0                                  // 000000003C5C: 85398039
	v_mfma_f32_16x16x32_fp8_fp8 v[68:71], a[66:67], a[34:35], v[68:71]// 000000003C60: D3F30044 1D124542
	buffer_load_dwordx4 a[60:63], v48, s[84:87], 0 offen offset:1024// 000000003C68: E05C1400 80953C30
	s_add_u32 s60, 0x100, s80                                  // 000000003C70: 803C50FF 00000100
	s_cmp_lt_u32 s60, s81                                      // 000000003C78: BF0A513C
	s_cselect_b32 s58, s58, 0                                  // 000000003C7C: 853A803A
	v_mfma_f32_16x16x32_fp8_fp8 v[68:71], a[68:69], a[36:37], v[68:71]// 000000003C80: D3F30044 1D124944
	s_add_u32 s60, 0x100, s80                                  // 000000003C88: 803C50FF 00000100
	s_cmp_lt_u32 s60, s81                                      // 000000003C90: BF0A513C
	s_cselect_b32 s83, s83, 0                                  // 000000003C94: 85538053
	v_mfma_f32_16x16x32_fp8_fp8 v[68:71], a[70:71], a[38:39], v[68:71]// 000000003C98: D3F30044 1D124D46
	ds_read_b128 a[8:11], v2 offset:512                        // 000000003CA0: DBFE0200 08000002
	ds_read_b128 a[12:15], v2 offset:576                       // 000000003CA8: DBFE0240 0C000002
	s_add_u32 s24, s58, s24                                    // 000000003CB0: 8018183A
	s_addc_u32 s25, 0, s25                                     // 000000003CB4: 82191980
	v_mfma_f32_16x16x32_fp8_fp8 v[72:75], a[64:65], a[40:41], v[72:75]// 000000003CB8: D3F30048 1D225140
	s_add_u32 s20, s57, s20                                    // 000000003CC0: 80141439
	s_addc_u32 s21, 0, s21                                     // 000000003CC4: 82151580
	v_mfma_f32_16x16x32_fp8_fp8 v[72:75], a[66:67], a[42:43], v[72:75]// 000000003CC8: D3F30048 1D225542
	s_add_u32 s84, s83, s84                                    // 000000003CD0: 80545453
	s_addc_u32 s85, 0, s85                                     // 000000003CD4: 82555580
	v_mfma_f32_16x16x32_fp8_fp8 v[72:75], a[68:69], a[44:45], v[72:75]// 000000003CD8: D3F30048 1D225944
	v_mfma_f32_16x16x32_fp8_fp8 v[72:75], a[70:71], a[46:47], v[72:75]// 000000003CE0: D3F30048 1D225D46
	ds_read_b128 a[16:19], v2 offset:1024                      // 000000003CE8: DBFE0400 10000002
	ds_read_b128 a[20:23], v2 offset:1088                      // 000000003CF0: DBFE0440 14000002
	s_addk_i32 s80, 0x80                                       // 000000003CF8: B7500080
	s_cmp_lt_i32 s80, s81                                      // 000000003CFC: BF045150
	s_cbranch_scc0 label_04C2                                  // 000000003D00: BF840001
	s_branch label_020F                                        // 000000003D04: BF82FD4D

0000000000003d08 <label_04C2>:
	v_mul_f32_dpp v52, v24, v52 row_newbcast:0 row_mask:0xf bank_mask:0xf// 000000003D08: 0A6868FA FF015018
	v_mul_f32_dpp v53, v24, v53 row_newbcast:1 row_mask:0xf bank_mask:0xf// 000000003D10: 0A6A6AFA FF015118
	v_mul_f32_dpp v54, v24, v54 row_newbcast:2 row_mask:0xf bank_mask:0xf// 000000003D18: 0A6C6CFA FF015218
	v_mul_f32_dpp v55, v24, v55 row_newbcast:3 row_mask:0xf bank_mask:0xf// 000000003D20: 0A6E6EFA FF015318
	v_mul_f32_dpp v56, v24, v56 row_newbcast:0 row_mask:0xf bank_mask:0xf// 000000003D28: 0A7070FA FF015018
	v_mul_f32_dpp v57, v24, v57 row_newbcast:1 row_mask:0xf bank_mask:0xf// 000000003D30: 0A7272FA FF015118
	v_mul_f32_dpp v58, v24, v58 row_newbcast:2 row_mask:0xf bank_mask:0xf// 000000003D38: 0A7474FA FF015218
	v_mul_f32_dpp v59, v24, v59 row_newbcast:3 row_mask:0xf bank_mask:0xf// 000000003D40: 0A7676FA FF015318
	v_mul_f32_dpp v60, v24, v60 row_newbcast:0 row_mask:0xf bank_mask:0xf// 000000003D48: 0A7878FA FF015018
	v_mul_f32_dpp v61, v24, v61 row_newbcast:1 row_mask:0xf bank_mask:0xf// 000000003D50: 0A7A7AFA FF015118
	v_mul_f32_dpp v62, v24, v62 row_newbcast:2 row_mask:0xf bank_mask:0xf// 000000003D58: 0A7C7CFA FF015218
	v_mul_f32_dpp v63, v24, v63 row_newbcast:3 row_mask:0xf bank_mask:0xf// 000000003D60: 0A7E7EFA FF015318
	v_mul_f32_dpp v64, v27, v64 row_newbcast:0 row_mask:0xf bank_mask:0xf// 000000003D68: 0A8080FA FF01501B
	v_mul_f32_dpp v65, v27, v65 row_newbcast:1 row_mask:0xf bank_mask:0xf// 000000003D70: 0A8282FA FF01511B
	v_mul_f32_dpp v66, v27, v66 row_newbcast:2 row_mask:0xf bank_mask:0xf// 000000003D78: 0A8484FA FF01521B
	v_mul_f32_dpp v67, v27, v67 row_newbcast:3 row_mask:0xf bank_mask:0xf// 000000003D80: 0A8686FA FF01531B
	v_mul_f32_dpp v68, v27, v68 row_newbcast:0 row_mask:0xf bank_mask:0xf// 000000003D88: 0A8888FA FF01501B
	v_mul_f32_dpp v69, v27, v69 row_newbcast:1 row_mask:0xf bank_mask:0xf// 000000003D90: 0A8A8AFA FF01511B
	v_mul_f32_dpp v70, v27, v70 row_newbcast:2 row_mask:0xf bank_mask:0xf// 000000003D98: 0A8C8CFA FF01521B
	v_mul_f32_dpp v71, v27, v71 row_newbcast:3 row_mask:0xf bank_mask:0xf// 000000003DA0: 0A8E8EFA FF01531B
	v_mul_f32_dpp v72, v27, v72 row_newbcast:0 row_mask:0xf bank_mask:0xf// 000000003DA8: 0A9090FA FF01501B
	v_mul_f32_dpp v73, v27, v73 row_newbcast:1 row_mask:0xf bank_mask:0xf// 000000003DB0: 0A9292FA FF01511B
	v_mul_f32_dpp v74, v27, v74 row_newbcast:2 row_mask:0xf bank_mask:0xf// 000000003DB8: 0A9494FA FF01521B
	v_mul_f32_dpp v75, v27, v75 row_newbcast:3 row_mask:0xf bank_mask:0xf// 000000003DC0: 0A9696FA FF01531B
	v_mul_f32_e32 v33, v33, v76                                // 000000003DC8: 0A429921
	v_mov_b32_e32 v4, v33                                      // 000000003DCC: 7E080321
	v_mov_b32_e32 v5, v4                                       // 000000003DD0: 7E0A0304
	v_pk_mul_f32 v[52:53], v[4:5], v[52:53]                    // 000000003DD4: D3B14034 18026904
	v_pk_mul_f32 v[64:65], v[4:5], v[64:65]                    // 000000003DDC: D3B14040 18028104
	v_pk_mul_f32 v[54:55], v[4:5], v[54:55]                    // 000000003DE4: D3B14036 18026D04
	v_pk_mul_f32 v[66:67], v[4:5], v[66:67]                    // 000000003DEC: D3B14042 18028504
	v_mul_f32_e32 v34, v34, v77                                // 000000003DF4: 0A449B22
	v_mov_b32_e32 v4, v34                                      // 000000003DF8: 7E080322
	v_mov_b32_e32 v5, v4                                       // 000000003DFC: 7E0A0304
	v_pk_mul_f32 v[56:57], v[4:5], v[56:57]                    // 000000003E00: D3B14038 18027104
	v_pk_mul_f32 v[68:69], v[4:5], v[68:69]                    // 000000003E08: D3B14044 18028904
	v_pk_mul_f32 v[58:59], v[4:5], v[58:59]                    // 000000003E10: D3B1403A 18027504
	v_pk_mul_f32 v[70:71], v[4:5], v[70:71]                    // 000000003E18: D3B14046 18028D04
	v_mul_f32_e32 v35, v35, v78                                // 000000003E20: 0A469D23
	v_mov_b32_e32 v4, v35                                      // 000000003E24: 7E080323
	v_mov_b32_e32 v5, v4                                       // 000000003E28: 7E0A0304
	v_pk_mul_f32 v[60:61], v[4:5], v[60:61]                    // 000000003E2C: D3B1403C 18027904
	v_pk_mul_f32 v[72:73], v[4:5], v[72:73]                    // 000000003E34: D3B14048 18029104
	v_pk_mul_f32 v[62:63], v[4:5], v[62:63]                    // 000000003E3C: D3B1403E 18027D04
	v_pk_mul_f32 v[74:75], v[4:5], v[74:75]                    // 000000003E44: D3B1404A 18029504
	s_cmp_eq_u32 s88, 0                                        // 000000003E4C: BF068058
	s_cbranch_scc0 label_0764                                  // 000000003E50: BF84024F
	s_cmp_eq_u32 s89, 0                                        // 000000003E54: BF068059
	s_cbranch_scc1 label_0594                                  // 000000003E58: BF85007D
	v_mov_b32_e32 v8, v1                                       // 000000003E5C: 7E100301
	v_mov_b32_e32 v9, v1                                       // 000000003E60: 7E120301
	s_mov_b32 s60, s6                                          // 000000003E64: BEBC0006
	s_mov_b32 s61, s6                                          // 000000003E68: BEBD0006
	v_pk_mul_f32 v[4:5], v[52:53], v[52:53]                    // 000000003E6C: D3B14004 18026934
	v_pk_mul_f32 v[6:7], v[54:55], v[54:55]                    // 000000003E74: D3B14006 18026D36
	v_pk_fma_f32 v[4:5], v[4:5], s[78:79], v[8:9]              // 000000003E7C: D3B04004 1C209D04
	v_pk_fma_f32 v[6:7], v[6:7], s[78:79], v[8:9]              // 000000003E84: D3B04006 1C209D06
	v_pk_mul_f32 v[4:5], v[4:5], v[52:53]                      // 000000003E8C: D3B14004 18026904
	v_pk_mul_f32 v[6:7], v[6:7], v[54:55]                      // 000000003E94: D3B14006 18026D06
	v_pk_mul_f32 v[4:5], v[4:5], s[60:61]                      // 000000003E9C: D3B14004 18007904
	v_pk_mul_f32 v[6:7], v[6:7], s[60:61]                      // 000000003EA4: D3B14006 18007906
	v_exp_f32_e32 v4, v4                                       // 000000003EAC: 7E084104
	v_exp_f32_e32 v5, v5                                       // 000000003EB0: 7E0A4105
	v_exp_f32_e32 v6, v6                                       // 000000003EB4: 7E0C4106
	v_exp_f32_e32 v7, v7                                       // 000000003EB8: 7E0E4107
	v_add_f32_e64 v4, v4, 1.0                                  // 000000003EBC: D1010004 0001E504
	v_add_f32_e64 v5, v5, 1.0                                  // 000000003EC4: D1010005 0001E505
	v_add_f32_e64 v6, v6, 1.0                                  // 000000003ECC: D1010006 0001E506
	v_add_f32_e64 v7, v7, 1.0                                  // 000000003ED4: D1010007 0001E507
	v_rcp_f32_e32 v4, v4                                       // 000000003EDC: 7E084504
	v_rcp_f32_e32 v5, v5                                       // 000000003EE0: 7E0A4505
	v_rcp_f32_e32 v6, v6                                       // 000000003EE4: 7E0C4506
	v_rcp_f32_e32 v7, v7                                       // 000000003EE8: 7E0E4507
	v_mul_f32_e32 v52, v52, v4                                 // 000000003EEC: 0A680934
	v_mul_f32_e32 v53, v53, v5                                 // 000000003EF0: 0A6A0B35
	v_mul_f32_e32 v54, v54, v6                                 // 000000003EF4: 0A6C0D36
	v_mul_f32_e32 v55, v55, v7                                 // 000000003EF8: 0A6E0F37
	v_mul_f32_e32 v52, v52, v64                                // 000000003EFC: 0A688134
	v_mul_f32_e32 v53, v53, v65                                // 000000003F00: 0A6A8335
	v_mul_f32_e32 v54, v54, v66                                // 000000003F04: 0A6C8536
	v_mul_f32_e32 v55, v55, v67                                // 000000003F08: 0A6E8737
	v_pk_mul_f32 v[4:5], v[56:57], v[56:57]                    // 000000003F0C: D3B14004 18027138
	v_pk_mul_f32 v[6:7], v[58:59], v[58:59]                    // 000000003F14: D3B14006 1802753A
	v_pk_fma_f32 v[4:5], v[4:5], s[78:79], v[8:9]              // 000000003F1C: D3B04004 1C209D04
	v_pk_fma_f32 v[6:7], v[6:7], s[78:79], v[8:9]              // 000000003F24: D3B04006 1C209D06
	v_pk_mul_f32 v[4:5], v[4:5], v[56:57]                      // 000000003F2C: D3B14004 18027104
	v_pk_mul_f32 v[6:7], v[6:7], v[58:59]                      // 000000003F34: D3B14006 18027506
	v_pk_mul_f32 v[4:5], v[4:5], s[60:61]                      // 000000003F3C: D3B14004 18007904
	v_pk_mul_f32 v[6:7], v[6:7], s[60:61]                      // 000000003F44: D3B14006 18007906
	v_exp_f32_e32 v4, v4                                       // 000000003F4C: 7E084104
	v_exp_f32_e32 v5, v5                                       // 000000003F50: 7E0A4105
	v_exp_f32_e32 v6, v6                                       // 000000003F54: 7E0C4106
	v_exp_f32_e32 v7, v7                                       // 000000003F58: 7E0E4107
	v_add_f32_e64 v4, v4, 1.0                                  // 000000003F5C: D1010004 0001E504
	v_add_f32_e64 v5, v5, 1.0                                  // 000000003F64: D1010005 0001E505
	v_add_f32_e64 v6, v6, 1.0                                  // 000000003F6C: D1010006 0001E506
	v_add_f32_e64 v7, v7, 1.0                                  // 000000003F74: D1010007 0001E507
	v_rcp_f32_e32 v4, v4                                       // 000000003F7C: 7E084504
	v_rcp_f32_e32 v5, v5                                       // 000000003F80: 7E0A4505
	v_rcp_f32_e32 v6, v6                                       // 000000003F84: 7E0C4506
	v_rcp_f32_e32 v7, v7                                       // 000000003F88: 7E0E4507
	v_mul_f32_e32 v56, v56, v4                                 // 000000003F8C: 0A700938
	v_mul_f32_e32 v57, v57, v5                                 // 000000003F90: 0A720B39
	v_mul_f32_e32 v58, v58, v6                                 // 000000003F94: 0A740D3A
	v_mul_f32_e32 v59, v59, v7                                 // 000000003F98: 0A760F3B
	v_mul_f32_e32 v56, v56, v68                                // 000000003F9C: 0A708938
	v_mul_f32_e32 v57, v57, v69                                // 000000003FA0: 0A728B39
	v_mul_f32_e32 v58, v58, v70                                // 000000003FA4: 0A748D3A
	v_mul_f32_e32 v59, v59, v71                                // 000000003FA8: 0A768F3B
	v_pk_mul_f32 v[4:5], v[60:61], v[60:61]                    // 000000003FAC: D3B14004 1802793C
	v_pk_mul_f32 v[6:7], v[62:63], v[62:63]                    // 000000003FB4: D3B14006 18027D3E
	v_pk_fma_f32 v[4:5], v[4:5], s[78:79], v[8:9]              // 000000003FBC: D3B04004 1C209D04
	v_pk_fma_f32 v[6:7], v[6:7], s[78:79], v[8:9]              // 000000003FC4: D3B04006 1C209D06
	v_pk_mul_f32 v[4:5], v[4:5], v[60:61]                      // 000000003FCC: D3B14004 18027904
	v_pk_mul_f32 v[6:7], v[6:7], v[62:63]                      // 000000003FD4: D3B14006 18027D06
	v_pk_mul_f32 v[4:5], v[4:5], s[60:61]                      // 000000003FDC: D3B14004 18007904
	v_pk_mul_f32 v[6:7], v[6:7], s[60:61]                      // 000000003FE4: D3B14006 18007906
	v_exp_f32_e32 v4, v4                                       // 000000003FEC: 7E084104
	v_exp_f32_e32 v5, v5                                       // 000000003FF0: 7E0A4105
	v_exp_f32_e32 v6, v6                                       // 000000003FF4: 7E0C4106
	v_exp_f32_e32 v7, v7                                       // 000000003FF8: 7E0E4107
	v_add_f32_e64 v4, v4, 1.0                                  // 000000003FFC: D1010004 0001E504
	v_add_f32_e64 v5, v5, 1.0                                  // 000000004004: D1010005 0001E505
	v_add_f32_e64 v6, v6, 1.0                                  // 00000000400C: D1010006 0001E506
	v_add_f32_e64 v7, v7, 1.0                                  // 000000004014: D1010007 0001E507
	v_rcp_f32_e32 v4, v4                                       // 00000000401C: 7E084504
	v_rcp_f32_e32 v5, v5                                       // 000000004020: 7E0A4505
	v_rcp_f32_e32 v6, v6                                       // 000000004024: 7E0C4506
	v_rcp_f32_e32 v7, v7                                       // 000000004028: 7E0E4507
	v_mul_f32_e32 v60, v60, v4                                 // 00000000402C: 0A78093C
	v_mul_f32_e32 v61, v61, v5                                 // 000000004030: 0A7A0B3D
	v_mul_f32_e32 v62, v62, v6                                 // 000000004034: 0A7C0D3E
	v_mul_f32_e32 v63, v63, v7                                 // 000000004038: 0A7E0F3F
	v_mul_f32_e32 v60, v60, v72                                // 00000000403C: 0A78913C
	v_mul_f32_e32 v61, v61, v73                                // 000000004040: 0A7A933D
	v_mul_f32_e32 v62, v62, v74                                // 000000004044: 0A7C953E
	v_mul_f32_e32 v63, v63, v75                                // 000000004048: 0A7E973F
	s_branch label_05F4                                        // 00000000404C: BF820060

0000000000004050 <label_0594>:
	v_mul_f32_e64 v4, -v52, s6                                 // 000000004050: D1050004 20000D34
	v_mul_f32_e64 v5, -v53, s6                                 // 000000004058: D1050005 20000D35
	v_mul_f32_e64 v6, -v54, s6                                 // 000000004060: D1050006 20000D36
	v_mul_f32_e64 v7, -v55, s6                                 // 000000004068: D1050007 20000D37
	v_exp_f32_e32 v4, v4                                       // 000000004070: 7E084104
	v_exp_f32_e32 v5, v5                                       // 000000004074: 7E0A4105
	v_exp_f32_e32 v6, v6                                       // 000000004078: 7E0C4106
	v_exp_f32_e32 v7, v7                                       // 00000000407C: 7E0E4107
	v_add_f32_e64 v4, v4, 1.0                                  // 000000004080: D1010004 0001E504
	v_add_f32_e64 v5, v5, 1.0                                  // 000000004088: D1010005 0001E505
	v_add_f32_e64 v6, v6, 1.0                                  // 000000004090: D1010006 0001E506
	v_add_f32_e64 v7, v7, 1.0                                  // 000000004098: D1010007 0001E507
	v_rcp_f32_e32 v4, v4                                       // 0000000040A0: 7E084504
	v_rcp_f32_e32 v5, v5                                       // 0000000040A4: 7E0A4505
	v_rcp_f32_e32 v6, v6                                       // 0000000040A8: 7E0C4506
	v_rcp_f32_e32 v7, v7                                       // 0000000040AC: 7E0E4507
	v_mul_f32_e32 v52, v52, v4                                 // 0000000040B0: 0A680934
	v_mul_f32_e32 v53, v53, v5                                 // 0000000040B4: 0A6A0B35
	v_mul_f32_e32 v54, v54, v6                                 // 0000000040B8: 0A6C0D36
	v_mul_f32_e32 v55, v55, v7                                 // 0000000040BC: 0A6E0F37
	v_mul_f32_e32 v52, v52, v64                                // 0000000040C0: 0A688134
	v_mul_f32_e32 v53, v53, v65                                // 0000000040C4: 0A6A8335
	v_mul_f32_e32 v54, v54, v66                                // 0000000040C8: 0A6C8536
	v_mul_f32_e32 v55, v55, v67                                // 0000000040CC: 0A6E8737
	v_mul_f32_e64 v4, -v56, s6                                 // 0000000040D0: D1050004 20000D38
	v_mul_f32_e64 v5, -v57, s6                                 // 0000000040D8: D1050005 20000D39
	v_mul_f32_e64 v6, -v58, s6                                 // 0000000040E0: D1050006 20000D3A
	v_mul_f32_e64 v7, -v59, s6                                 // 0000000040E8: D1050007 20000D3B
	v_exp_f32_e32 v4, v4                                       // 0000000040F0: 7E084104
	v_exp_f32_e32 v5, v5                                       // 0000000040F4: 7E0A4105
	v_exp_f32_e32 v6, v6                                       // 0000000040F8: 7E0C4106
	v_exp_f32_e32 v7, v7                                       // 0000000040FC: 7E0E4107
	v_add_f32_e64 v4, v4, 1.0                                  // 000000004100: D1010004 0001E504
	v_add_f32_e64 v5, v5, 1.0                                  // 000000004108: D1010005 0001E505
	v_add_f32_e64 v6, v6, 1.0                                  // 000000004110: D1010006 0001E506
	v_add_f32_e64 v7, v7, 1.0                                  // 000000004118: D1010007 0001E507
	v_rcp_f32_e32 v4, v4                                       // 000000004120: 7E084504
	v_rcp_f32_e32 v5, v5                                       // 000000004124: 7E0A4505
	v_rcp_f32_e32 v6, v6                                       // 000000004128: 7E0C4506
	v_rcp_f32_e32 v7, v7                                       // 00000000412C: 7E0E4507
	v_mul_f32_e32 v56, v56, v4                                 // 000000004130: 0A700938
	v_mul_f32_e32 v57, v57, v5                                 // 000000004134: 0A720B39
	v_mul_f32_e32 v58, v58, v6                                 // 000000004138: 0A740D3A
	v_mul_f32_e32 v59, v59, v7                                 // 00000000413C: 0A760F3B
	v_mul_f32_e32 v56, v56, v68                                // 000000004140: 0A708938
	v_mul_f32_e32 v57, v57, v69                                // 000000004144: 0A728B39
	v_mul_f32_e32 v58, v58, v70                                // 000000004148: 0A748D3A
	v_mul_f32_e32 v59, v59, v71                                // 00000000414C: 0A768F3B
	v_mul_f32_e64 v4, -v60, s6                                 // 000000004150: D1050004 20000D3C
	v_mul_f32_e64 v5, -v61, s6                                 // 000000004158: D1050005 20000D3D
	v_mul_f32_e64 v6, -v62, s6                                 // 000000004160: D1050006 20000D3E
	v_mul_f32_e64 v7, -v63, s6                                 // 000000004168: D1050007 20000D3F
	v_exp_f32_e32 v4, v4                                       // 000000004170: 7E084104
	v_exp_f32_e32 v5, v5                                       // 000000004174: 7E0A4105
	v_exp_f32_e32 v6, v6                                       // 000000004178: 7E0C4106
	v_exp_f32_e32 v7, v7                                       // 00000000417C: 7E0E4107
	v_add_f32_e64 v4, v4, 1.0                                  // 000000004180: D1010004 0001E504
	v_add_f32_e64 v5, v5, 1.0                                  // 000000004188: D1010005 0001E505
	v_add_f32_e64 v6, v6, 1.0                                  // 000000004190: D1010006 0001E506
	v_add_f32_e64 v7, v7, 1.0                                  // 000000004198: D1010007 0001E507
	v_rcp_f32_e32 v4, v4                                       // 0000000041A0: 7E084504
	v_rcp_f32_e32 v5, v5                                       // 0000000041A4: 7E0A4505
	v_rcp_f32_e32 v6, v6                                       // 0000000041A8: 7E0C4506
	v_rcp_f32_e32 v7, v7                                       // 0000000041AC: 7E0E4507
	v_mul_f32_e32 v60, v60, v4                                 // 0000000041B0: 0A78093C
	v_mul_f32_e32 v61, v61, v5                                 // 0000000041B4: 0A7A0B3D
	v_mul_f32_e32 v62, v62, v6                                 // 0000000041B8: 0A7C0D3E
	v_mul_f32_e32 v63, v63, v7                                 // 0000000041BC: 0A7E0F3F
	v_mul_f32_e32 v60, v60, v72                                // 0000000041C0: 0A78913C
	v_mul_f32_e32 v61, v61, v73                                // 0000000041C4: 0A7A933D
	v_mul_f32_e32 v62, v62, v74                                // 0000000041C8: 0A7C953E
	v_mul_f32_e32 v63, v63, v75                                // 0000000041CC: 0A7E973F

00000000000041d0 <label_05F4>:
	v_cmp_u_f32_e64 s[46:47], v52, v52                         // 0000000041D0: D048002E 00026934
	v_add3_u32 v16, v52, v19, 1                                // 0000000041D8: D1FF0010 02062734
	v_cndmask_b32_e64 v4, v16, v18, s[46:47]                   // 0000000041E0: D1000004 00BA2510
	v_cmp_u_f32_e64 s[46:47], v53, v53                         // 0000000041E8: D048002E 00026B35
	v_add3_u32 v16, v53, v19, 1                                // 0000000041F0: D1FF0010 02062735
	v_cndmask_b32_e64 v5, v16, v18, s[46:47]                   // 0000000041F8: D1000005 00BA2510
	v_perm_b32 v52, v5, v4, s52                                // 000000004200: D1ED0034 00D20905
	v_cmp_u_f32_e64 s[46:47], v54, v54                         // 000000004208: D048002E 00026D36
	v_add3_u32 v16, v54, v19, 1                                // 000000004210: D1FF0010 02062736
	v_cndmask_b32_e64 v4, v16, v18, s[46:47]                   // 000000004218: D1000004 00BA2510
	v_cmp_u_f32_e64 s[46:47], v55, v55                         // 000000004220: D048002E 00026F37
	v_add3_u32 v16, v55, v19, 1                                // 000000004228: D1FF0010 02062737
	v_cndmask_b32_e64 v5, v16, v18, s[46:47]                   // 000000004230: D1000005 00BA2510
	v_perm_b32 v53, v5, v4, s52                                // 000000004238: D1ED0035 00D20905
	v_cmp_u_f32_e64 s[46:47], v56, v56                         // 000000004240: D048002E 00027138
	v_add3_u32 v16, v56, v19, 1                                // 000000004248: D1FF0010 02062738
	v_cndmask_b32_e64 v4, v16, v18, s[46:47]                   // 000000004250: D1000004 00BA2510
	v_cmp_u_f32_e64 s[46:47], v57, v57                         // 000000004258: D048002E 00027339
	v_add3_u32 v16, v57, v19, 1                                // 000000004260: D1FF0010 02062739
	v_cndmask_b32_e64 v5, v16, v18, s[46:47]                   // 000000004268: D1000005 00BA2510
	v_perm_b32 v54, v5, v4, s52                                // 000000004270: D1ED0036 00D20905
	v_cmp_u_f32_e64 s[46:47], v58, v58                         // 000000004278: D048002E 0002753A
	v_add3_u32 v16, v58, v19, 1                                // 000000004280: D1FF0010 0206273A
	v_cndmask_b32_e64 v4, v16, v18, s[46:47]                   // 000000004288: D1000004 00BA2510
	v_cmp_u_f32_e64 s[46:47], v59, v59                         // 000000004290: D048002E 0002773B
	v_add3_u32 v16, v59, v19, 1                                // 000000004298: D1FF0010 0206273B
	v_cndmask_b32_e64 v5, v16, v18, s[46:47]                   // 0000000042A0: D1000005 00BA2510
	v_perm_b32 v55, v5, v4, s52                                // 0000000042A8: D1ED0037 00D20905
	v_cmp_u_f32_e64 s[46:47], v60, v60                         // 0000000042B0: D048002E 0002793C
	v_add3_u32 v16, v60, v19, 1                                // 0000000042B8: D1FF0010 0206273C
	v_cndmask_b32_e64 v4, v16, v18, s[46:47]                   // 0000000042C0: D1000004 00BA2510
	v_cmp_u_f32_e64 s[46:47], v61, v61                         // 0000000042C8: D048002E 00027B3D
	v_add3_u32 v16, v61, v19, 1                                // 0000000042D0: D1FF0010 0206273D
	v_cndmask_b32_e64 v5, v16, v18, s[46:47]                   // 0000000042D8: D1000005 00BA2510
	v_perm_b32 v56, v5, v4, s52                                // 0000000042E0: D1ED0038 00D20905
	v_cmp_u_f32_e64 s[46:47], v62, v62                         // 0000000042E8: D048002E 00027D3E
	v_add3_u32 v16, v62, v19, 1                                // 0000000042F0: D1FF0010 0206273E
	v_cndmask_b32_e64 v4, v16, v18, s[46:47]                   // 0000000042F8: D1000004 00BA2510
	v_cmp_u_f32_e64 s[46:47], v63, v63                         // 000000004300: D048002E 00027F3F
	v_add3_u32 v16, v63, v19, 1                                // 000000004308: D1FF0010 0206273F
	v_cndmask_b32_e64 v5, v16, v18, s[46:47]                   // 000000004310: D1000005 00BA2510
	v_perm_b32 v57, v5, v4, s52                                // 000000004318: D1ED0039 00D20905
	ds_write_b64 v20, v[52:53]                                 // 000000004320: D89A0000 00003414
	ds_write_b64 v20, v[54:55] offset:2176                     // 000000004328: D89A0880 00003614
	ds_write_b64 v20, v[56:57] offset:4352                     // 000000004330: D89A1100 00003814
	v_lshrrev_b32_e32 v4, 5, v0                                // 000000004338: 20080085
	v_xor_b32_e32 v5, 1, v4                                    // 00000000433C: 2A0A0881
	s_mul_i32 s60, s65, 2                                      // 000000004340: 923C8241
	s_cmp_eq_u32 s88, 0                                        // 000000004344: BF068058
	s_cselect_b32 s61, 1, 4                                    // 000000004348: 853D8481
	s_mul_i32 s60, s61, s60                                    // 00000000434C: 923C3C3D
	v_readlane_b32 s82, v3, 0                                  // 000000004350: D2890052 00010103
	s_lshr_b32 s61, s82, 24                                    // 000000004358: 8F3D9852
	s_and_b32 s82, s82, 0xffffff                               // 00000000435C: 8652FF52 00FFFFFF
	s_mul_i32 s82, s82, s71                                    // 000000004364: 92524752
	s_mul_i32 s61, s60, s61                                    // 000000004368: 923D3D3C
	s_add_u32 s82, s82, s61                                    // 00000000436C: 80523D52
	v_mul_lo_u32 v6, v5, s82                                   // 000000004370: D2850006 0000A505
	v_readlane_b32 s82, v3, 1                                  // 000000004378: D2890052 00010303
	s_lshr_b32 s61, s82, 24                                    // 000000004380: 8F3D9852
	s_and_b32 s82, s82, 0xffffff                               // 000000004384: 8652FF52 00FFFFFF
	s_mul_i32 s82, s82, s71                                    // 00000000438C: 92524752
	s_mul_i32 s61, s60, s61                                    // 000000004390: 923D3D3C
	s_add_u32 s82, s82, s61                                    // 000000004394: 80523D52
	v_mul_lo_u32 v7, v4, s82                                   // 000000004398: D2850007 0000A504
	v_add_u32_e32 v42, v6, v7                                  // 0000000043A0: 68540F06
	v_readlane_b32 s82, v3, 2                                  // 0000000043A4: D2890052 00010503
	s_lshr_b32 s61, s82, 24                                    // 0000000043AC: 8F3D9852
	s_and_b32 s82, s82, 0xffffff                               // 0000000043B0: 8652FF52 00FFFFFF
	s_mul_i32 s82, s82, s71                                    // 0000000043B8: 92524752
	s_mul_i32 s61, s60, s61                                    // 0000000043BC: 923D3D3C
	s_add_u32 s82, s82, s61                                    // 0000000043C0: 80523D52
	v_mul_lo_u32 v6, v5, s82                                   // 0000000043C4: D2850006 0000A505
	v_readlane_b32 s82, v3, 3                                  // 0000000043CC: D2890052 00010703
	s_lshr_b32 s61, s82, 24                                    // 0000000043D4: 8F3D9852
	s_and_b32 s82, s82, 0xffffff                               // 0000000043D8: 8652FF52 00FFFFFF
	s_mul_i32 s82, s82, s71                                    // 0000000043E0: 92524752
	s_mul_i32 s61, s60, s61                                    // 0000000043E4: 923D3D3C
	s_add_u32 s82, s82, s61                                    // 0000000043E8: 80523D52
	v_mul_lo_u32 v7, v4, s82                                   // 0000000043EC: D2850007 0000A504
	v_add_u32_e32 v43, v6, v7                                  // 0000000043F4: 68560F06
	v_readlane_b32 s82, v3, 4                                  // 0000000043F8: D2890052 00010903
	s_lshr_b32 s61, s82, 24                                    // 000000004400: 8F3D9852
	s_and_b32 s82, s82, 0xffffff                               // 000000004404: 8652FF52 00FFFFFF
	s_mul_i32 s82, s82, s71                                    // 00000000440C: 92524752
	s_mul_i32 s61, s60, s61                                    // 000000004410: 923D3D3C
	s_add_u32 s82, s82, s61                                    // 000000004414: 80523D52
	v_mul_lo_u32 v6, v5, s82                                   // 000000004418: D2850006 0000A505
	v_readlane_b32 s82, v3, 5                                  // 000000004420: D2890052 00010B03
	s_lshr_b32 s61, s82, 24                                    // 000000004428: 8F3D9852
	s_and_b32 s82, s82, 0xffffff                               // 00000000442C: 8652FF52 00FFFFFF
	s_mul_i32 s82, s82, s71                                    // 000000004434: 92524752
	s_mul_i32 s61, s60, s61                                    // 000000004438: 923D3D3C
	s_add_u32 s82, s82, s61                                    // 00000000443C: 80523D52
	v_mul_lo_u32 v7, v4, s82                                   // 000000004440: D2850007 0000A504
	v_add_u32_e32 v44, v6, v7                                  // 000000004448: 68580F06
	v_readlane_b32 s82, v3, 6                                  // 00000000444C: D2890052 00010D03
	s_lshr_b32 s61, s82, 24                                    // 000000004454: 8F3D9852
	s_and_b32 s82, s82, 0xffffff                               // 000000004458: 8652FF52 00FFFFFF
	s_mul_i32 s82, s82, s71                                    // 000000004460: 92524752
	s_mul_i32 s61, s60, s61                                    // 000000004464: 923D3D3C
	s_add_u32 s82, s82, s61                                    // 000000004468: 80523D52
	v_mul_lo_u32 v6, v5, s82                                   // 00000000446C: D2850006 0000A505
	v_readlane_b32 s82, v3, 7                                  // 000000004474: D2890052 00010F03
	s_lshr_b32 s61, s82, 24                                    // 00000000447C: 8F3D9852
	s_and_b32 s82, s82, 0xffffff                               // 000000004480: 8652FF52 00FFFFFF
	s_mul_i32 s82, s82, s71                                    // 000000004488: 92524752
	s_mul_i32 s61, s60, s61                                    // 00000000448C: 923D3D3C
	s_add_u32 s82, s82, s61                                    // 000000004490: 80523D52
	v_mul_lo_u32 v7, v4, s82                                   // 000000004494: D2850007 0000A504
	v_add_u32_e32 v45, v6, v7                                  // 00000000449C: 685A0F06
	v_readlane_b32 s82, v3, 8                                  // 0000000044A0: D2890052 00011103
	s_lshr_b32 s61, s82, 24                                    // 0000000044A8: 8F3D9852
	s_and_b32 s82, s82, 0xffffff                               // 0000000044AC: 8652FF52 00FFFFFF
	s_mul_i32 s82, s82, s71                                    // 0000000044B4: 92524752
	s_mul_i32 s61, s60, s61                                    // 0000000044B8: 923D3D3C
	s_add_u32 s82, s82, s61                                    // 0000000044BC: 80523D52
	v_mul_lo_u32 v6, v5, s82                                   // 0000000044C0: D2850006 0000A505
	v_readlane_b32 s82, v3, 9                                  // 0000000044C8: D2890052 00011303
	s_lshr_b32 s61, s82, 24                                    // 0000000044D0: 8F3D9852
	s_and_b32 s82, s82, 0xffffff                               // 0000000044D4: 8652FF52 00FFFFFF
	s_mul_i32 s82, s82, s71                                    // 0000000044DC: 92524752
	s_mul_i32 s61, s60, s61                                    // 0000000044E0: 923D3D3C
	s_add_u32 s82, s82, s61                                    // 0000000044E4: 80523D52
	v_mul_lo_u32 v7, v4, s82                                   // 0000000044E8: D2850007 0000A504
	v_add_u32_e32 v46, v6, v7                                  // 0000000044F0: 685C0F06
	v_readlane_b32 s82, v3, 10                                 // 0000000044F4: D2890052 00011503
	s_lshr_b32 s61, s82, 24                                    // 0000000044FC: 8F3D9852
	s_and_b32 s82, s82, 0xffffff                               // 000000004500: 8652FF52 00FFFFFF
	s_mul_i32 s82, s82, s71                                    // 000000004508: 92524752
	s_mul_i32 s61, s60, s61                                    // 00000000450C: 923D3D3C
	s_add_u32 s82, s82, s61                                    // 000000004510: 80523D52
	v_mul_lo_u32 v6, v5, s82                                   // 000000004514: D2850006 0000A505
	v_readlane_b32 s82, v3, 11                                 // 00000000451C: D2890052 00011703
	s_lshr_b32 s61, s82, 24                                    // 000000004524: 8F3D9852
	s_and_b32 s82, s82, 0xffffff                               // 000000004528: 8652FF52 00FFFFFF
	s_mul_i32 s82, s82, s71                                    // 000000004530: 92524752
	s_mul_i32 s61, s60, s61                                    // 000000004534: 923D3D3C
	s_add_u32 s82, s82, s61                                    // 000000004538: 80523D52
	v_mul_lo_u32 v7, v4, s82                                   // 00000000453C: D2850007 0000A504
	v_add_u32_e32 v47, v6, v7                                  // 000000004544: 685E0F06
	v_and_b32_e32 v4, 31, v0                                   // 000000004548: 2608009F
	v_lshrrev_b32_e32 v4, 1, v4                                // 00000000454C: 20080881
	s_cmp_eq_u32 s88, 0                                        // 000000004550: BF068058
	s_cselect_b32 s61, 2, 4                                    // 000000004554: 853D8482
	v_mul_lo_u32 v4, v4, s61                                   // 000000004558: D2850004 00007B04
	v_and_b32_e64 v5, v0, 1                                    // 000000004560: D1130005 00010300
	v_add_u32_e32 v4, v4, v5                                   // 000000004568: 68080B04
	v_lshlrev_b32_e32 v4, 2, v4                                // 00000000456C: 24080882
	v_add_u32_e32 v42, v42, v4                                 // 000000004570: 6854092A
	v_add_u32_e32 v43, v43, v4                                 // 000000004574: 6856092B
	v_add_u32_e32 v44, v44, v4                                 // 000000004578: 6858092C
	v_add_u32_e32 v45, v45, v4                                 // 00000000457C: 685A092D
	v_add_u32_e32 v46, v46, v4                                 // 000000004580: 685C092E
	v_add_u32_e32 v47, v47, v4                                 // 000000004584: 685E092F
	s_waitcnt lgkmcnt(0)                                       // 000000004588: BF8CC07F
	s_barrier                                                  // 00000000458C: BF8A0000
	ds_read_b32 v52, v21                                       // 000000004590: D86C0000 34000015
	ds_read_b32 v53, v21 offset:64                             // 000000004598: D86C0040 35000015
	ds_read_b32 v54, v21 offset:2176                           // 0000000045A0: D86C0880 36000015
	ds_read_b32 v55, v21 offset:2240                           // 0000000045A8: D86C08C0 37000015
	ds_read_b32 v56, v21 offset:4352                           // 0000000045B0: D86C1100 38000015
	ds_read_b32 v57, v21 offset:4416                           // 0000000045B8: D86C1140 39000015
	s_waitcnt lgkmcnt(0)                                       // 0000000045C0: BF8CC07F
	s_mov_b32 s36, -1                                          // 0000000045C4: BEA400C1
	s_mov_b32 s37, -1                                          // 0000000045C8: BEA500C1
	v_mov_b32_e32 v7, 0                                        // 0000000045CC: 7E0E0280
	s_or_b32 s9, s9, 0x40000                                   // 0000000045D0: 8709FF09 00040000
	s_mov_b64 exec, s[36:37]                                   // 0000000045D8: BEFE0124
	v_mov_b32_e32 v6, v42                                      // 0000000045DC: 7E0C032A
	s_mov_b64 s[60:61], 0                                      // 0000000045E0: BEBC0180
	v_readlane_b32 s82, v3, 0                                  // 0000000045E4: D2890052 00010103
	s_and_b32 s82, s82, 0xffffff                               // 0000000045EC: 8652FF52 00FFFFFF
	s_cmp_lt_u32 s82, s66                                      // 0000000045F4: BF0A4252
	s_cselect_b32 s20, s36, s60                                // 0000000045F8: 85143C24
	v_readlane_b32 s82, v3, 1                                  // 0000000045FC: D2890052 00010303
	s_and_b32 s82, s82, 0xffffff                               // 000000004604: 8652FF52 00FFFFFF
	s_cmp_lt_u32 s82, s66                                      // 00000000460C: BF0A4252
	s_cselect_b32 s21, s36, s60                                // 000000004610: 85153C24
	s_mov_b64 exec, s[20:21]                                   // 000000004614: BEFE0114
	buffer_store_dword v52, v6, s[8:11], 0 offen               // 000000004618: E0701000 80023406
	s_mov_b64 exec, s[36:37]                                   // 000000004620: BEFE0124
	v_mov_b32_e32 v6, v43                                      // 000000004624: 7E0C032B
	s_mov_b64 s[60:61], 0                                      // 000000004628: BEBC0180
	v_readlane_b32 s82, v3, 2                                  // 00000000462C: D2890052 00010503
	s_and_b32 s82, s82, 0xffffff                               // 000000004634: 8652FF52 00FFFFFF
	s_cmp_lt_u32 s82, s66                                      // 00000000463C: BF0A4252
	s_cselect_b32 s20, s36, s60                                // 000000004640: 85143C24
	v_readlane_b32 s82, v3, 3                                  // 000000004644: D2890052 00010703
	s_and_b32 s82, s82, 0xffffff                               // 00000000464C: 8652FF52 00FFFFFF
	s_cmp_lt_u32 s82, s66                                      // 000000004654: BF0A4252
	s_cselect_b32 s21, s36, s60                                // 000000004658: 85153C24
	s_mov_b64 exec, s[20:21]                                   // 00000000465C: BEFE0114
	buffer_store_dword v53, v6, s[8:11], 0 offen               // 000000004660: E0701000 80023506
	s_mov_b64 exec, s[36:37]                                   // 000000004668: BEFE0124
	v_mov_b32_e32 v6, v44                                      // 00000000466C: 7E0C032C
	s_mov_b64 s[60:61], 0                                      // 000000004670: BEBC0180
	v_readlane_b32 s82, v3, 4                                  // 000000004674: D2890052 00010903
	s_and_b32 s82, s82, 0xffffff                               // 00000000467C: 8652FF52 00FFFFFF
	s_cmp_lt_u32 s82, s66                                      // 000000004684: BF0A4252
	s_cselect_b32 s20, s36, s60                                // 000000004688: 85143C24
	v_readlane_b32 s82, v3, 5                                  // 00000000468C: D2890052 00010B03
	s_and_b32 s82, s82, 0xffffff                               // 000000004694: 8652FF52 00FFFFFF
	s_cmp_lt_u32 s82, s66                                      // 00000000469C: BF0A4252
	s_cselect_b32 s21, s36, s60                                // 0000000046A0: 85153C24
	s_mov_b64 exec, s[20:21]                                   // 0000000046A4: BEFE0114
	buffer_store_dword v54, v6, s[8:11], 0 offen               // 0000000046A8: E0701000 80023606
	s_mov_b64 exec, s[36:37]                                   // 0000000046B0: BEFE0124
	v_mov_b32_e32 v6, v45                                      // 0000000046B4: 7E0C032D
	s_mov_b64 s[60:61], 0                                      // 0000000046B8: BEBC0180
	v_readlane_b32 s82, v3, 6                                  // 0000000046BC: D2890052 00010D03
	s_and_b32 s82, s82, 0xffffff                               // 0000000046C4: 8652FF52 00FFFFFF
	s_cmp_lt_u32 s82, s66                                      // 0000000046CC: BF0A4252
	s_cselect_b32 s20, s36, s60                                // 0000000046D0: 85143C24
	v_readlane_b32 s82, v3, 7                                  // 0000000046D4: D2890052 00010F03
	s_and_b32 s82, s82, 0xffffff                               // 0000000046DC: 8652FF52 00FFFFFF
	s_cmp_lt_u32 s82, s66                                      // 0000000046E4: BF0A4252
	s_cselect_b32 s21, s36, s60                                // 0000000046E8: 85153C24
	s_mov_b64 exec, s[20:21]                                   // 0000000046EC: BEFE0114
	buffer_store_dword v55, v6, s[8:11], 0 offen               // 0000000046F0: E0701000 80023706
	s_mov_b64 exec, s[36:37]                                   // 0000000046F8: BEFE0124
	v_mov_b32_e32 v6, v46                                      // 0000000046FC: 7E0C032E
	s_mov_b64 s[60:61], 0                                      // 000000004700: BEBC0180
	v_readlane_b32 s82, v3, 8                                  // 000000004704: D2890052 00011103
	s_and_b32 s82, s82, 0xffffff                               // 00000000470C: 8652FF52 00FFFFFF
	s_cmp_lt_u32 s82, s66                                      // 000000004714: BF0A4252
	s_cselect_b32 s20, s36, s60                                // 000000004718: 85143C24
	v_readlane_b32 s82, v3, 9                                  // 00000000471C: D2890052 00011303
	s_and_b32 s82, s82, 0xffffff                               // 000000004724: 8652FF52 00FFFFFF
	s_cmp_lt_u32 s82, s66                                      // 00000000472C: BF0A4252
	s_cselect_b32 s21, s36, s60                                // 000000004730: 85153C24
	s_mov_b64 exec, s[20:21]                                   // 000000004734: BEFE0114
	buffer_store_dword v56, v6, s[8:11], 0 offen               // 000000004738: E0701000 80023806
	s_mov_b64 exec, s[36:37]                                   // 000000004740: BEFE0124
	v_mov_b32_e32 v6, v47                                      // 000000004744: 7E0C032F
	s_mov_b64 s[60:61], 0                                      // 000000004748: BEBC0180
	v_readlane_b32 s82, v3, 10                                 // 00000000474C: D2890052 00011503
	s_and_b32 s82, s82, 0xffffff                               // 000000004754: 8652FF52 00FFFFFF
	s_cmp_lt_u32 s82, s66                                      // 00000000475C: BF0A4252
	s_cselect_b32 s20, s36, s60                                // 000000004760: 85143C24
	v_readlane_b32 s82, v3, 11                                 // 000000004764: D2890052 00011703
	s_and_b32 s82, s82, 0xffffff                               // 00000000476C: 8652FF52 00FFFFFF
	s_cmp_lt_u32 s82, s66                                      // 000000004774: BF0A4252
	s_cselect_b32 s21, s36, s60                                // 000000004778: 85153C24
	s_mov_b64 exec, s[20:21]                                   // 00000000477C: BEFE0114
	buffer_store_dword v57, v6, s[8:11], 0 offen               // 000000004780: E0701000 80023906
	s_mov_b64 exec, s[36:37]                                   // 000000004788: BEFE0124
	s_branch label_1208                                        // 00000000478C: BF820AA1

0000000000004790 <label_0764>:
	ds_write_b64 v20, v[52:53]                                 // 000000004790: D89A0000 00003414
	ds_write_b64 v20, v[56:57] offset:2176                     // 000000004798: D89A0880 00003814
	ds_write_b64 v20, v[60:61] offset:4352                     // 0000000047A0: D89A1100 00003C14
	v_lshrrev_b32_e32 v4, 5, v0                                // 0000000047A8: 20080085
	v_xor_b32_e32 v5, 1, v4                                    // 0000000047AC: 2A0A0881
	s_mul_i32 s60, s65, 2                                      // 0000000047B0: 923C8241
	s_cmp_eq_u32 s88, 0                                        // 0000000047B4: BF068058
	s_cselect_b32 s61, 1, 4                                    // 0000000047B8: 853D8481
	s_mul_i32 s60, s61, s60                                    // 0000000047BC: 923C3C3D
	v_readlane_b32 s82, v3, 0                                  // 0000000047C0: D2890052 00010103
	s_lshr_b32 s61, s82, 24                                    // 0000000047C8: 8F3D9852
	s_and_b32 s82, s82, 0xffffff                               // 0000000047CC: 8652FF52 00FFFFFF
	s_mul_i32 s82, s82, s71                                    // 0000000047D4: 92524752
	s_mul_i32 s61, s60, s61                                    // 0000000047D8: 923D3D3C
	s_add_u32 s82, s82, s61                                    // 0000000047DC: 80523D52
	v_mul_lo_u32 v6, v5, s82                                   // 0000000047E0: D2850006 0000A505
	v_readlane_b32 s82, v3, 1                                  // 0000000047E8: D2890052 00010303
	s_lshr_b32 s61, s82, 24                                    // 0000000047F0: 8F3D9852
	s_and_b32 s82, s82, 0xffffff                               // 0000000047F4: 8652FF52 00FFFFFF
	s_mul_i32 s82, s82, s71                                    // 0000000047FC: 92524752
	s_mul_i32 s61, s60, s61                                    // 000000004800: 923D3D3C
	s_add_u32 s82, s82, s61                                    // 000000004804: 80523D52
	v_mul_lo_u32 v7, v4, s82                                   // 000000004808: D2850007 0000A504
	v_add_u32_e32 v42, v6, v7                                  // 000000004810: 68540F06
	v_readlane_b32 s82, v3, 2                                  // 000000004814: D2890052 00010503
	s_lshr_b32 s61, s82, 24                                    // 00000000481C: 8F3D9852
	s_and_b32 s82, s82, 0xffffff                               // 000000004820: 8652FF52 00FFFFFF
	s_mul_i32 s82, s82, s71                                    // 000000004828: 92524752
	s_mul_i32 s61, s60, s61                                    // 00000000482C: 923D3D3C
	s_add_u32 s82, s82, s61                                    // 000000004830: 80523D52
	v_mul_lo_u32 v6, v5, s82                                   // 000000004834: D2850006 0000A505
	v_readlane_b32 s82, v3, 3                                  // 00000000483C: D2890052 00010703
	s_lshr_b32 s61, s82, 24                                    // 000000004844: 8F3D9852
	s_and_b32 s82, s82, 0xffffff                               // 000000004848: 8652FF52 00FFFFFF
	s_mul_i32 s82, s82, s71                                    // 000000004850: 92524752
	s_mul_i32 s61, s60, s61                                    // 000000004854: 923D3D3C
	s_add_u32 s82, s82, s61                                    // 000000004858: 80523D52
	v_mul_lo_u32 v7, v4, s82                                   // 00000000485C: D2850007 0000A504
	v_add_u32_e32 v43, v6, v7                                  // 000000004864: 68560F06
	v_readlane_b32 s82, v3, 4                                  // 000000004868: D2890052 00010903
	s_lshr_b32 s61, s82, 24                                    // 000000004870: 8F3D9852
	s_and_b32 s82, s82, 0xffffff                               // 000000004874: 8652FF52 00FFFFFF
	s_mul_i32 s82, s82, s71                                    // 00000000487C: 92524752
	s_mul_i32 s61, s60, s61                                    // 000000004880: 923D3D3C
	s_add_u32 s82, s82, s61                                    // 000000004884: 80523D52
	v_mul_lo_u32 v6, v5, s82                                   // 000000004888: D2850006 0000A505
	v_readlane_b32 s82, v3, 5                                  // 000000004890: D2890052 00010B03
	s_lshr_b32 s61, s82, 24                                    // 000000004898: 8F3D9852
	s_and_b32 s82, s82, 0xffffff                               // 00000000489C: 8652FF52 00FFFFFF
	s_mul_i32 s82, s82, s71                                    // 0000000048A4: 92524752
	s_mul_i32 s61, s60, s61                                    // 0000000048A8: 923D3D3C
	s_add_u32 s82, s82, s61                                    // 0000000048AC: 80523D52
	v_mul_lo_u32 v7, v4, s82                                   // 0000000048B0: D2850007 0000A504
	v_add_u32_e32 v44, v6, v7                                  // 0000000048B8: 68580F06
	v_readlane_b32 s82, v3, 6                                  // 0000000048BC: D2890052 00010D03
	s_lshr_b32 s61, s82, 24                                    // 0000000048C4: 8F3D9852
	s_and_b32 s82, s82, 0xffffff                               // 0000000048C8: 8652FF52 00FFFFFF
	s_mul_i32 s82, s82, s71                                    // 0000000048D0: 92524752
	s_mul_i32 s61, s60, s61                                    // 0000000048D4: 923D3D3C
	s_add_u32 s82, s82, s61                                    // 0000000048D8: 80523D52
	v_mul_lo_u32 v6, v5, s82                                   // 0000000048DC: D2850006 0000A505
	v_readlane_b32 s82, v3, 7                                  // 0000000048E4: D2890052 00010F03
	s_lshr_b32 s61, s82, 24                                    // 0000000048EC: 8F3D9852
	s_and_b32 s82, s82, 0xffffff                               // 0000000048F0: 8652FF52 00FFFFFF
	s_mul_i32 s82, s82, s71                                    // 0000000048F8: 92524752
	s_mul_i32 s61, s60, s61                                    // 0000000048FC: 923D3D3C
	s_add_u32 s82, s82, s61                                    // 000000004900: 80523D52
	v_mul_lo_u32 v7, v4, s82                                   // 000000004904: D2850007 0000A504
	v_add_u32_e32 v45, v6, v7                                  // 00000000490C: 685A0F06
	v_readlane_b32 s82, v3, 8                                  // 000000004910: D2890052 00011103
	s_lshr_b32 s61, s82, 24                                    // 000000004918: 8F3D9852
	s_and_b32 s82, s82, 0xffffff                               // 00000000491C: 8652FF52 00FFFFFF
	s_mul_i32 s82, s82, s71                                    // 000000004924: 92524752
	s_mul_i32 s61, s60, s61                                    // 000000004928: 923D3D3C
	s_add_u32 s82, s82, s61                                    // 00000000492C: 80523D52
	v_mul_lo_u32 v6, v5, s82                                   // 000000004930: D2850006 0000A505
	v_readlane_b32 s82, v3, 9                                  // 000000004938: D2890052 00011303
	s_lshr_b32 s61, s82, 24                                    // 000000004940: 8F3D9852
	s_and_b32 s82, s82, 0xffffff                               // 000000004944: 8652FF52 00FFFFFF
	s_mul_i32 s82, s82, s71                                    // 00000000494C: 92524752
	s_mul_i32 s61, s60, s61                                    // 000000004950: 923D3D3C
	s_add_u32 s82, s82, s61                                    // 000000004954: 80523D52
	v_mul_lo_u32 v7, v4, s82                                   // 000000004958: D2850007 0000A504
	v_add_u32_e32 v46, v6, v7                                  // 000000004960: 685C0F06
	v_readlane_b32 s82, v3, 10                                 // 000000004964: D2890052 00011503
	s_lshr_b32 s61, s82, 24                                    // 00000000496C: 8F3D9852
	s_and_b32 s82, s82, 0xffffff                               // 000000004970: 8652FF52 00FFFFFF
	s_mul_i32 s82, s82, s71                                    // 000000004978: 92524752
	s_mul_i32 s61, s60, s61                                    // 00000000497C: 923D3D3C
	s_add_u32 s82, s82, s61                                    // 000000004980: 80523D52
	v_mul_lo_u32 v6, v5, s82                                   // 000000004984: D2850006 0000A505
	v_readlane_b32 s82, v3, 11                                 // 00000000498C: D2890052 00011703
	s_lshr_b32 s61, s82, 24                                    // 000000004994: 8F3D9852
	s_and_b32 s82, s82, 0xffffff                               // 000000004998: 8652FF52 00FFFFFF
	s_mul_i32 s82, s82, s71                                    // 0000000049A0: 92524752
	s_mul_i32 s61, s60, s61                                    // 0000000049A4: 923D3D3C
	s_add_u32 s82, s82, s61                                    // 0000000049A8: 80523D52
	v_mul_lo_u32 v7, v4, s82                                   // 0000000049AC: D2850007 0000A504
	v_add_u32_e32 v47, v6, v7                                  // 0000000049B4: 685E0F06
	v_and_b32_e32 v4, 31, v0                                   // 0000000049B8: 2608009F
	v_lshrrev_b32_e32 v4, 1, v4                                // 0000000049BC: 20080881
	s_cmp_eq_u32 s88, 0                                        // 0000000049C0: BF068058
	s_cselect_b32 s61, 2, 4                                    // 0000000049C4: 853D8482
	v_mul_lo_u32 v4, v4, s61                                   // 0000000049C8: D2850004 00007B04
	v_and_b32_e64 v5, v0, 1                                    // 0000000049D0: D1130005 00010300
	v_add_u32_e32 v4, v4, v5                                   // 0000000049D8: 68080B04
	v_lshlrev_b32_e32 v4, 2, v4                                // 0000000049DC: 24080882
	v_add_u32_e32 v42, v42, v4                                 // 0000000049E0: 6854092A
	v_add_u32_e32 v43, v43, v4                                 // 0000000049E4: 6856092B
	v_add_u32_e32 v44, v44, v4                                 // 0000000049E8: 6858092C
	v_add_u32_e32 v45, v45, v4                                 // 0000000049EC: 685A092D
	v_add_u32_e32 v46, v46, v4                                 // 0000000049F0: 685C092E
	v_add_u32_e32 v47, v47, v4                                 // 0000000049F4: 685E092F
	s_waitcnt lgkmcnt(0)                                       // 0000000049F8: BF8CC07F
	s_barrier                                                  // 0000000049FC: BF8A0000
	ds_read_b32 v52, v21                                       // 000000004A00: D86C0000 34000015
	ds_read_b32 v53, v21 offset:64                             // 000000004A08: D86C0040 35000015
	ds_read_b32 v56, v21 offset:2176                           // 000000004A10: D86C0880 38000015
	ds_read_b32 v57, v21 offset:2240                           // 000000004A18: D86C08C0 39000015
	ds_read_b32 v60, v21 offset:4352                           // 000000004A20: D86C1100 3C000015
	ds_read_b32 v61, v21 offset:4416                           // 000000004A28: D86C1140 3D000015
	s_waitcnt lgkmcnt(0)                                       // 000000004A30: BF8CC07F
	s_mov_b32 s36, -1                                          // 000000004A34: BEA400C1
	s_mov_b32 s37, -1                                          // 000000004A38: BEA500C1
	v_mov_b32_e32 v7, 0                                        // 000000004A3C: 7E0E0280
	s_mov_b64 exec, s[36:37]                                   // 000000004A40: BEFE0124
	v_mov_b32_e32 v6, v42                                      // 000000004A44: 7E0C032A
	s_mov_b64 s[60:61], 0                                      // 000000004A48: BEBC0180
	v_readlane_b32 s82, v3, 0                                  // 000000004A4C: D2890052 00010103
	s_and_b32 s82, s82, 0xffffff                               // 000000004A54: 8652FF52 00FFFFFF
	s_cmp_lt_u32 s82, s66                                      // 000000004A5C: BF0A4252
	s_cselect_b32 s20, s36, s60                                // 000000004A60: 85143C24
	v_readlane_b32 s82, v3, 1                                  // 000000004A64: D2890052 00010303
	s_and_b32 s82, s82, 0xffffff                               // 000000004A6C: 8652FF52 00FFFFFF
	s_cmp_lt_u32 s82, s66                                      // 000000004A74: BF0A4252
	s_cselect_b32 s21, s36, s60                                // 000000004A78: 85153C24
	s_mov_b64 exec, s[20:21]                                   // 000000004A7C: BEFE0114
	global_atomic_add_f32 v6, v52, s[8:9]                      // 000000004A80: DD348000 00083406
	s_mov_b64 exec, s[36:37]                                   // 000000004A88: BEFE0124
	v_mov_b32_e32 v6, v43                                      // 000000004A8C: 7E0C032B
	s_mov_b64 s[60:61], 0                                      // 000000004A90: BEBC0180
	v_readlane_b32 s82, v3, 2                                  // 000000004A94: D2890052 00010503
	s_and_b32 s82, s82, 0xffffff                               // 000000004A9C: 8652FF52 00FFFFFF
	s_cmp_lt_u32 s82, s66                                      // 000000004AA4: BF0A4252
	s_cselect_b32 s20, s36, s60                                // 000000004AA8: 85143C24
	v_readlane_b32 s82, v3, 3                                  // 000000004AAC: D2890052 00010703
	s_and_b32 s82, s82, 0xffffff                               // 000000004AB4: 8652FF52 00FFFFFF
	s_cmp_lt_u32 s82, s66                                      // 000000004ABC: BF0A4252
	s_cselect_b32 s21, s36, s60                                // 000000004AC0: 85153C24
	s_mov_b64 exec, s[20:21]                                   // 000000004AC4: BEFE0114
	global_atomic_add_f32 v6, v53, s[8:9]                      // 000000004AC8: DD348000 00083506
	s_mov_b64 exec, s[36:37]                                   // 000000004AD0: BEFE0124
	v_mov_b32_e32 v6, v44                                      // 000000004AD4: 7E0C032C
	s_mov_b64 s[60:61], 0                                      // 000000004AD8: BEBC0180
	v_readlane_b32 s82, v3, 4                                  // 000000004ADC: D2890052 00010903
	s_and_b32 s82, s82, 0xffffff                               // 000000004AE4: 8652FF52 00FFFFFF
	s_cmp_lt_u32 s82, s66                                      // 000000004AEC: BF0A4252
	s_cselect_b32 s20, s36, s60                                // 000000004AF0: 85143C24
	v_readlane_b32 s82, v3, 5                                  // 000000004AF4: D2890052 00010B03
	s_and_b32 s82, s82, 0xffffff                               // 000000004AFC: 8652FF52 00FFFFFF
	s_cmp_lt_u32 s82, s66                                      // 000000004B04: BF0A4252
	s_cselect_b32 s21, s36, s60                                // 000000004B08: 85153C24
	s_mov_b64 exec, s[20:21]                                   // 000000004B0C: BEFE0114
	global_atomic_add_f32 v6, v56, s[8:9]                      // 000000004B10: DD348000 00083806
	s_mov_b64 exec, s[36:37]                                   // 000000004B18: BEFE0124
	v_mov_b32_e32 v6, v45                                      // 000000004B1C: 7E0C032D
	s_mov_b64 s[60:61], 0                                      // 000000004B20: BEBC0180
	v_readlane_b32 s82, v3, 6                                  // 000000004B24: D2890052 00010D03
	s_and_b32 s82, s82, 0xffffff                               // 000000004B2C: 8652FF52 00FFFFFF
	s_cmp_lt_u32 s82, s66                                      // 000000004B34: BF0A4252
	s_cselect_b32 s20, s36, s60                                // 000000004B38: 85143C24
	v_readlane_b32 s82, v3, 7                                  // 000000004B3C: D2890052 00010F03
	s_and_b32 s82, s82, 0xffffff                               // 000000004B44: 8652FF52 00FFFFFF
	s_cmp_lt_u32 s82, s66                                      // 000000004B4C: BF0A4252
	s_cselect_b32 s21, s36, s60                                // 000000004B50: 85153C24
	s_mov_b64 exec, s[20:21]                                   // 000000004B54: BEFE0114
	global_atomic_add_f32 v6, v57, s[8:9]                      // 000000004B58: DD348000 00083906
	s_mov_b64 exec, s[36:37]                                   // 000000004B60: BEFE0124
	v_mov_b32_e32 v6, v46                                      // 000000004B64: 7E0C032E
	s_mov_b64 s[60:61], 0                                      // 000000004B68: BEBC0180
	v_readlane_b32 s82, v3, 8                                  // 000000004B6C: D2890052 00011103
	s_and_b32 s82, s82, 0xffffff                               // 000000004B74: 8652FF52 00FFFFFF
	s_cmp_lt_u32 s82, s66                                      // 000000004B7C: BF0A4252
	s_cselect_b32 s20, s36, s60                                // 000000004B80: 85143C24
	v_readlane_b32 s82, v3, 9                                  // 000000004B84: D2890052 00011303
	s_and_b32 s82, s82, 0xffffff                               // 000000004B8C: 8652FF52 00FFFFFF
	s_cmp_lt_u32 s82, s66                                      // 000000004B94: BF0A4252
	s_cselect_b32 s21, s36, s60                                // 000000004B98: 85153C24
	s_mov_b64 exec, s[20:21]                                   // 000000004B9C: BEFE0114
	global_atomic_add_f32 v6, v60, s[8:9]                      // 000000004BA0: DD348000 00083C06
	s_mov_b64 exec, s[36:37]                                   // 000000004BA8: BEFE0124
	v_mov_b32_e32 v6, v47                                      // 000000004BAC: 7E0C032F
	s_mov_b64 s[60:61], 0                                      // 000000004BB0: BEBC0180
	v_readlane_b32 s82, v3, 10                                 // 000000004BB4: D2890052 00011503
	s_and_b32 s82, s82, 0xffffff                               // 000000004BBC: 8652FF52 00FFFFFF
	s_cmp_lt_u32 s82, s66                                      // 000000004BC4: BF0A4252
	s_cselect_b32 s20, s36, s60                                // 000000004BC8: 85143C24
	v_readlane_b32 s82, v3, 11                                 // 000000004BCC: D2890052 00011703
	s_and_b32 s82, s82, 0xffffff                               // 000000004BD4: 8652FF52 00FFFFFF
	s_cmp_lt_u32 s82, s66                                      // 000000004BDC: BF0A4252
	s_cselect_b32 s21, s36, s60                                // 000000004BE0: 85153C24
	s_mov_b64 exec, s[20:21]                                   // 000000004BE4: BEFE0114
	global_atomic_add_f32 v6, v61, s[8:9]                      // 000000004BE8: DD348000 00083D06
	s_mov_b64 exec, s[36:37]                                   // 000000004BF0: BEFE0124
	ds_write_b64 v20, v[54:55]                                 // 000000004BF4: D89A0000 00003614
	ds_write_b64 v20, v[58:59] offset:2176                     // 000000004BFC: D89A0880 00003A14
	ds_write_b64 v20, v[62:63] offset:4352                     // 000000004C04: D89A1100 00003E14
	s_waitcnt lgkmcnt(0)                                       // 000000004C0C: BF8CC07F
	s_barrier                                                  // 000000004C10: BF8A0000
	ds_read_b32 v54, v21                                       // 000000004C14: D86C0000 36000015
	ds_read_b32 v55, v21 offset:64                             // 000000004C1C: D86C0040 37000015
	ds_read_b32 v58, v21 offset:2176                           // 000000004C24: D86C0880 3A000015
	ds_read_b32 v59, v21 offset:2240                           // 000000004C2C: D86C08C0 3B000015
	ds_read_b32 v62, v21 offset:4352                           // 000000004C34: D86C1100 3E000015
	ds_read_b32 v63, v21 offset:4416                           // 000000004C3C: D86C1140 3F000015
	s_waitcnt lgkmcnt(0)                                       // 000000004C44: BF8CC07F
	v_mov_b32_e32 v7, 0                                        // 000000004C48: 7E0E0280
	s_mov_b64 exec, s[36:37]                                   // 000000004C4C: BEFE0124
	v_mov_b32_e32 v6, v42                                      // 000000004C50: 7E0C032A
	s_mov_b64 s[60:61], 0                                      // 000000004C54: BEBC0180
	v_readlane_b32 s82, v3, 0                                  // 000000004C58: D2890052 00010103
	s_and_b32 s82, s82, 0xffffff                               // 000000004C60: 8652FF52 00FFFFFF
	s_cmp_lt_u32 s82, s66                                      // 000000004C68: BF0A4252
	s_cselect_b32 s20, s36, s60                                // 000000004C6C: 85143C24
	v_readlane_b32 s82, v3, 1                                  // 000000004C70: D2890052 00010303
	s_and_b32 s82, s82, 0xffffff                               // 000000004C78: 8652FF52 00FFFFFF
	s_cmp_lt_u32 s82, s66                                      // 000000004C80: BF0A4252
	s_cselect_b32 s21, s36, s60                                // 000000004C84: 85153C24
	s_mov_b64 exec, s[20:21]                                   // 000000004C88: BEFE0114
	global_atomic_add_f32 v6, v54, s[8:9] offset:8             // 000000004C8C: DD348008 00083606
	s_mov_b64 exec, s[36:37]                                   // 000000004C94: BEFE0124
	v_mov_b32_e32 v6, v43                                      // 000000004C98: 7E0C032B
	s_mov_b64 s[60:61], 0                                      // 000000004C9C: BEBC0180
	v_readlane_b32 s82, v3, 2                                  // 000000004CA0: D2890052 00010503
	s_and_b32 s82, s82, 0xffffff                               // 000000004CA8: 8652FF52 00FFFFFF
	s_cmp_lt_u32 s82, s66                                      // 000000004CB0: BF0A4252
	s_cselect_b32 s20, s36, s60                                // 000000004CB4: 85143C24
	v_readlane_b32 s82, v3, 3                                  // 000000004CB8: D2890052 00010703
	s_and_b32 s82, s82, 0xffffff                               // 000000004CC0: 8652FF52 00FFFFFF
	s_cmp_lt_u32 s82, s66                                      // 000000004CC8: BF0A4252
	s_cselect_b32 s21, s36, s60                                // 000000004CCC: 85153C24
	s_mov_b64 exec, s[20:21]                                   // 000000004CD0: BEFE0114
	global_atomic_add_f32 v6, v55, s[8:9] offset:8             // 000000004CD4: DD348008 00083706
	s_mov_b64 exec, s[36:37]                                   // 000000004CDC: BEFE0124
	v_mov_b32_e32 v6, v44                                      // 000000004CE0: 7E0C032C
	s_mov_b64 s[60:61], 0                                      // 000000004CE4: BEBC0180
	v_readlane_b32 s82, v3, 4                                  // 000000004CE8: D2890052 00010903
	s_and_b32 s82, s82, 0xffffff                               // 000000004CF0: 8652FF52 00FFFFFF
	s_cmp_lt_u32 s82, s66                                      // 000000004CF8: BF0A4252
	s_cselect_b32 s20, s36, s60                                // 000000004CFC: 85143C24
	v_readlane_b32 s82, v3, 5                                  // 000000004D00: D2890052 00010B03
	s_and_b32 s82, s82, 0xffffff                               // 000000004D08: 8652FF52 00FFFFFF
	s_cmp_lt_u32 s82, s66                                      // 000000004D10: BF0A4252
	s_cselect_b32 s21, s36, s60                                // 000000004D14: 85153C24
	s_mov_b64 exec, s[20:21]                                   // 000000004D18: BEFE0114
	global_atomic_add_f32 v6, v58, s[8:9] offset:8             // 000000004D1C: DD348008 00083A06
	s_mov_b64 exec, s[36:37]                                   // 000000004D24: BEFE0124
	v_mov_b32_e32 v6, v45                                      // 000000004D28: 7E0C032D
	s_mov_b64 s[60:61], 0                                      // 000000004D2C: BEBC0180
	v_readlane_b32 s82, v3, 6                                  // 000000004D30: D2890052 00010D03
	s_and_b32 s82, s82, 0xffffff                               // 000000004D38: 8652FF52 00FFFFFF
	s_cmp_lt_u32 s82, s66                                      // 000000004D40: BF0A4252
	s_cselect_b32 s20, s36, s60                                // 000000004D44: 85143C24
	v_readlane_b32 s82, v3, 7                                  // 000000004D48: D2890052 00010F03
	s_and_b32 s82, s82, 0xffffff                               // 000000004D50: 8652FF52 00FFFFFF
	s_cmp_lt_u32 s82, s66                                      // 000000004D58: BF0A4252
	s_cselect_b32 s21, s36, s60                                // 000000004D5C: 85153C24
	s_mov_b64 exec, s[20:21]                                   // 000000004D60: BEFE0114
	global_atomic_add_f32 v6, v59, s[8:9] offset:8             // 000000004D64: DD348008 00083B06
	s_mov_b64 exec, s[36:37]                                   // 000000004D6C: BEFE0124
	v_mov_b32_e32 v6, v46                                      // 000000004D70: 7E0C032E
	s_mov_b64 s[60:61], 0                                      // 000000004D74: BEBC0180
	v_readlane_b32 s82, v3, 8                                  // 000000004D78: D2890052 00011103
	s_and_b32 s82, s82, 0xffffff                               // 000000004D80: 8652FF52 00FFFFFF
	s_cmp_lt_u32 s82, s66                                      // 000000004D88: BF0A4252
	s_cselect_b32 s20, s36, s60                                // 000000004D8C: 85143C24
	v_readlane_b32 s82, v3, 9                                  // 000000004D90: D2890052 00011303
	s_and_b32 s82, s82, 0xffffff                               // 000000004D98: 8652FF52 00FFFFFF
	s_cmp_lt_u32 s82, s66                                      // 000000004DA0: BF0A4252
	s_cselect_b32 s21, s36, s60                                // 000000004DA4: 85153C24
	s_mov_b64 exec, s[20:21]                                   // 000000004DA8: BEFE0114
	global_atomic_add_f32 v6, v62, s[8:9] offset:8             // 000000004DAC: DD348008 00083E06
	s_mov_b64 exec, s[36:37]                                   // 000000004DB4: BEFE0124
	v_mov_b32_e32 v6, v47                                      // 000000004DB8: 7E0C032F
	s_mov_b64 s[60:61], 0                                      // 000000004DBC: BEBC0180
	v_readlane_b32 s82, v3, 10                                 // 000000004DC0: D2890052 00011503
	s_and_b32 s82, s82, 0xffffff                               // 000000004DC8: 8652FF52 00FFFFFF
	s_cmp_lt_u32 s82, s66                                      // 000000004DD0: BF0A4252
	s_cselect_b32 s20, s36, s60                                // 000000004DD4: 85143C24
	v_readlane_b32 s82, v3, 11                                 // 000000004DD8: D2890052 00011703
	s_and_b32 s82, s82, 0xffffff                               // 000000004DE0: 8652FF52 00FFFFFF
	s_cmp_lt_u32 s82, s66                                      // 000000004DE8: BF0A4252
	s_cselect_b32 s21, s36, s60                                // 000000004DEC: 85153C24
	s_mov_b64 exec, s[20:21]                                   // 000000004DF0: BEFE0114
	global_atomic_add_f32 v6, v63, s[8:9] offset:8             // 000000004DF4: DD348008 00083F06
	s_mov_b64 exec, s[36:37]                                   // 000000004DFC: BEFE0124
	ds_write_b64 v20, v[64:65]                                 // 000000004E00: D89A0000 00004014
	ds_write_b64 v20, v[68:69] offset:2176                     // 000000004E08: D89A0880 00004414
	ds_write_b64 v20, v[72:73] offset:4352                     // 000000004E10: D89A1100 00004814
	s_waitcnt lgkmcnt(0)                                       // 000000004E18: BF8CC07F
	s_barrier                                                  // 000000004E1C: BF8A0000
	ds_read_b32 v64, v21                                       // 000000004E20: D86C0000 40000015
	ds_read_b32 v65, v21 offset:64                             // 000000004E28: D86C0040 41000015
	ds_read_b32 v68, v21 offset:2176                           // 000000004E30: D86C0880 44000015
	ds_read_b32 v69, v21 offset:2240                           // 000000004E38: D86C08C0 45000015
	ds_read_b32 v72, v21 offset:4352                           // 000000004E40: D86C1100 48000015
	ds_read_b32 v73, v21 offset:4416                           // 000000004E48: D86C1140 49000015
	s_mul_i32 s60, s65, 4                                      // 000000004E50: 923C8441
	s_add_u32 s8, s60, s8                                      // 000000004E54: 8008083C
	s_addc_u32 s9, 0, s9                                       // 000000004E58: 82090980
	s_waitcnt lgkmcnt(0)                                       // 000000004E5C: BF8CC07F
	v_mov_b32_e32 v7, 0                                        // 000000004E60: 7E0E0280
	s_mov_b64 exec, s[36:37]                                   // 000000004E64: BEFE0124
	v_mov_b32_e32 v6, v42                                      // 000000004E68: 7E0C032A
	s_mov_b64 s[60:61], 0                                      // 000000004E6C: BEBC0180
	v_readlane_b32 s82, v3, 0                                  // 000000004E70: D2890052 00010103
	s_and_b32 s82, s82, 0xffffff                               // 000000004E78: 8652FF52 00FFFFFF
	s_cmp_lt_u32 s82, s66                                      // 000000004E80: BF0A4252
	s_cselect_b32 s20, s36, s60                                // 000000004E84: 85143C24
	v_readlane_b32 s82, v3, 1                                  // 000000004E88: D2890052 00010303
	s_and_b32 s82, s82, 0xffffff                               // 000000004E90: 8652FF52 00FFFFFF
	s_cmp_lt_u32 s82, s66                                      // 000000004E98: BF0A4252
	s_cselect_b32 s21, s36, s60                                // 000000004E9C: 85153C24
	s_mov_b64 exec, s[20:21]                                   // 000000004EA0: BEFE0114
	global_atomic_add_f32 v6, v64, s[8:9]                      // 000000004EA4: DD348000 00084006
	s_mov_b64 exec, s[36:37]                                   // 000000004EAC: BEFE0124
	v_mov_b32_e32 v6, v43                                      // 000000004EB0: 7E0C032B
	s_mov_b64 s[60:61], 0                                      // 000000004EB4: BEBC0180
	v_readlane_b32 s82, v3, 2                                  // 000000004EB8: D2890052 00010503
	s_and_b32 s82, s82, 0xffffff                               // 000000004EC0: 8652FF52 00FFFFFF
	s_cmp_lt_u32 s82, s66                                      // 000000004EC8: BF0A4252
	s_cselect_b32 s20, s36, s60                                // 000000004ECC: 85143C24
	v_readlane_b32 s82, v3, 3                                  // 000000004ED0: D2890052 00010703
	s_and_b32 s82, s82, 0xffffff                               // 000000004ED8: 8652FF52 00FFFFFF
	s_cmp_lt_u32 s82, s66                                      // 000000004EE0: BF0A4252
	s_cselect_b32 s21, s36, s60                                // 000000004EE4: 85153C24
	s_mov_b64 exec, s[20:21]                                   // 000000004EE8: BEFE0114
	global_atomic_add_f32 v6, v65, s[8:9]                      // 000000004EEC: DD348000 00084106
	s_mov_b64 exec, s[36:37]                                   // 000000004EF4: BEFE0124
	v_mov_b32_e32 v6, v44                                      // 000000004EF8: 7E0C032C
	s_mov_b64 s[60:61], 0                                      // 000000004EFC: BEBC0180
	v_readlane_b32 s82, v3, 4                                  // 000000004F00: D2890052 00010903
	s_and_b32 s82, s82, 0xffffff                               // 000000004F08: 8652FF52 00FFFFFF
	s_cmp_lt_u32 s82, s66                                      // 000000004F10: BF0A4252
	s_cselect_b32 s20, s36, s60                                // 000000004F14: 85143C24
	v_readlane_b32 s82, v3, 5                                  // 000000004F18: D2890052 00010B03
	s_and_b32 s82, s82, 0xffffff                               // 000000004F20: 8652FF52 00FFFFFF
	s_cmp_lt_u32 s82, s66                                      // 000000004F28: BF0A4252
	s_cselect_b32 s21, s36, s60                                // 000000004F2C: 85153C24
	s_mov_b64 exec, s[20:21]                                   // 000000004F30: BEFE0114
	global_atomic_add_f32 v6, v68, s[8:9]                      // 000000004F34: DD348000 00084406
	s_mov_b64 exec, s[36:37]                                   // 000000004F3C: BEFE0124
	v_mov_b32_e32 v6, v45                                      // 000000004F40: 7E0C032D
	s_mov_b64 s[60:61], 0                                      // 000000004F44: BEBC0180
	v_readlane_b32 s82, v3, 6                                  // 000000004F48: D2890052 00010D03
	s_and_b32 s82, s82, 0xffffff                               // 000000004F50: 8652FF52 00FFFFFF
	s_cmp_lt_u32 s82, s66                                      // 000000004F58: BF0A4252
	s_cselect_b32 s20, s36, s60                                // 000000004F5C: 85143C24
	v_readlane_b32 s82, v3, 7                                  // 000000004F60: D2890052 00010F03
	s_and_b32 s82, s82, 0xffffff                               // 000000004F68: 8652FF52 00FFFFFF
	s_cmp_lt_u32 s82, s66                                      // 000000004F70: BF0A4252
	s_cselect_b32 s21, s36, s60                                // 000000004F74: 85153C24
	s_mov_b64 exec, s[20:21]                                   // 000000004F78: BEFE0114
	global_atomic_add_f32 v6, v69, s[8:9]                      // 000000004F7C: DD348000 00084506
	s_mov_b64 exec, s[36:37]                                   // 000000004F84: BEFE0124
	v_mov_b32_e32 v6, v46                                      // 000000004F88: 7E0C032E
	s_mov_b64 s[60:61], 0                                      // 000000004F8C: BEBC0180
	v_readlane_b32 s82, v3, 8                                  // 000000004F90: D2890052 00011103
	s_and_b32 s82, s82, 0xffffff                               // 000000004F98: 8652FF52 00FFFFFF
	s_cmp_lt_u32 s82, s66                                      // 000000004FA0: BF0A4252
	s_cselect_b32 s20, s36, s60                                // 000000004FA4: 85143C24
	v_readlane_b32 s82, v3, 9                                  // 000000004FA8: D2890052 00011303
	s_and_b32 s82, s82, 0xffffff                               // 000000004FB0: 8652FF52 00FFFFFF
	s_cmp_lt_u32 s82, s66                                      // 000000004FB8: BF0A4252
	s_cselect_b32 s21, s36, s60                                // 000000004FBC: 85153C24
	s_mov_b64 exec, s[20:21]                                   // 000000004FC0: BEFE0114
	global_atomic_add_f32 v6, v72, s[8:9]                      // 000000004FC4: DD348000 00084806
	s_mov_b64 exec, s[36:37]                                   // 000000004FCC: BEFE0124
	v_mov_b32_e32 v6, v47                                      // 000000004FD0: 7E0C032F
	s_mov_b64 s[60:61], 0                                      // 000000004FD4: BEBC0180
	v_readlane_b32 s82, v3, 10                                 // 000000004FD8: D2890052 00011503
	s_and_b32 s82, s82, 0xffffff                               // 000000004FE0: 8652FF52 00FFFFFF
	s_cmp_lt_u32 s82, s66                                      // 000000004FE8: BF0A4252
	s_cselect_b32 s20, s36, s60                                // 000000004FEC: 85143C24
	v_readlane_b32 s82, v3, 11                                 // 000000004FF0: D2890052 00011703
	s_and_b32 s82, s82, 0xffffff                               // 000000004FF8: 8652FF52 00FFFFFF
	s_cmp_lt_u32 s82, s66                                      // 000000005000: BF0A4252
	s_cselect_b32 s21, s36, s60                                // 000000005004: 85153C24
	s_mov_b64 exec, s[20:21]                                   // 000000005008: BEFE0114
	global_atomic_add_f32 v6, v73, s[8:9]                      // 00000000500C: DD348000 00084906
	s_mov_b64 exec, s[36:37]                                   // 000000005014: BEFE0124
	ds_write_b64 v20, v[66:67]                                 // 000000005018: D89A0000 00004214
	ds_write_b64 v20, v[70:71] offset:2176                     // 000000005020: D89A0880 00004614
	ds_write_b64 v20, v[74:75] offset:4352                     // 000000005028: D89A1100 00004A14
	s_waitcnt lgkmcnt(0)                                       // 000000005030: BF8CC07F
	s_barrier                                                  // 000000005034: BF8A0000
	ds_read_b32 v66, v21                                       // 000000005038: D86C0000 42000015
	ds_read_b32 v67, v21 offset:64                             // 000000005040: D86C0040 43000015
	ds_read_b32 v70, v21 offset:2176                           // 000000005048: D86C0880 46000015
	ds_read_b32 v71, v21 offset:2240                           // 000000005050: D86C08C0 47000015
	ds_read_b32 v74, v21 offset:4352                           // 000000005058: D86C1100 4A000015
	ds_read_b32 v75, v21 offset:4416                           // 000000005060: D86C1140 4B000015
	s_waitcnt lgkmcnt(0)                                       // 000000005068: BF8CC07F
	v_mov_b32_e32 v7, 0                                        // 00000000506C: 7E0E0280
	s_mov_b64 exec, s[36:37]                                   // 000000005070: BEFE0124
	v_mov_b32_e32 v6, v42                                      // 000000005074: 7E0C032A
	s_mov_b64 s[60:61], 0                                      // 000000005078: BEBC0180
	v_readlane_b32 s82, v3, 0                                  // 00000000507C: D2890052 00010103
	s_and_b32 s82, s82, 0xffffff                               // 000000005084: 8652FF52 00FFFFFF
	s_cmp_lt_u32 s82, s66                                      // 00000000508C: BF0A4252
	s_cselect_b32 s20, s36, s60                                // 000000005090: 85143C24
	v_readlane_b32 s82, v3, 1                                  // 000000005094: D2890052 00010303
	s_and_b32 s82, s82, 0xffffff                               // 00000000509C: 8652FF52 00FFFFFF
	s_cmp_lt_u32 s82, s66                                      // 0000000050A4: BF0A4252
	s_cselect_b32 s21, s36, s60                                // 0000000050A8: 85153C24
	s_mov_b64 exec, s[20:21]                                   // 0000000050AC: BEFE0114
	global_atomic_add_f32 v6, v66, s[8:9] offset:8             // 0000000050B0: DD348008 00084206
	s_mov_b64 exec, s[36:37]                                   // 0000000050B8: BEFE0124
	v_mov_b32_e32 v6, v43                                      // 0000000050BC: 7E0C032B
	s_mov_b64 s[60:61], 0                                      // 0000000050C0: BEBC0180
	v_readlane_b32 s82, v3, 2                                  // 0000000050C4: D2890052 00010503
	s_and_b32 s82, s82, 0xffffff                               // 0000000050CC: 8652FF52 00FFFFFF
	s_cmp_lt_u32 s82, s66                                      // 0000000050D4: BF0A4252
	s_cselect_b32 s20, s36, s60                                // 0000000050D8: 85143C24
	v_readlane_b32 s82, v3, 3                                  // 0000000050DC: D2890052 00010703
	s_and_b32 s82, s82, 0xffffff                               // 0000000050E4: 8652FF52 00FFFFFF
	s_cmp_lt_u32 s82, s66                                      // 0000000050EC: BF0A4252
	s_cselect_b32 s21, s36, s60                                // 0000000050F0: 85153C24
	s_mov_b64 exec, s[20:21]                                   // 0000000050F4: BEFE0114
	global_atomic_add_f32 v6, v67, s[8:9] offset:8             // 0000000050F8: DD348008 00084306
	s_mov_b64 exec, s[36:37]                                   // 000000005100: BEFE0124
	v_mov_b32_e32 v6, v44                                      // 000000005104: 7E0C032C
	s_mov_b64 s[60:61], 0                                      // 000000005108: BEBC0180
	v_readlane_b32 s82, v3, 4                                  // 00000000510C: D2890052 00010903
	s_and_b32 s82, s82, 0xffffff                               // 000000005114: 8652FF52 00FFFFFF
	s_cmp_lt_u32 s82, s66                                      // 00000000511C: BF0A4252
	s_cselect_b32 s20, s36, s60                                // 000000005120: 85143C24
	v_readlane_b32 s82, v3, 5                                  // 000000005124: D2890052 00010B03
	s_and_b32 s82, s82, 0xffffff                               // 00000000512C: 8652FF52 00FFFFFF
	s_cmp_lt_u32 s82, s66                                      // 000000005134: BF0A4252
	s_cselect_b32 s21, s36, s60                                // 000000005138: 85153C24
	s_mov_b64 exec, s[20:21]                                   // 00000000513C: BEFE0114
	global_atomic_add_f32 v6, v70, s[8:9] offset:8             // 000000005140: DD348008 00084606
	s_mov_b64 exec, s[36:37]                                   // 000000005148: BEFE0124
	v_mov_b32_e32 v6, v45                                      // 00000000514C: 7E0C032D
	s_mov_b64 s[60:61], 0                                      // 000000005150: BEBC0180
	v_readlane_b32 s82, v3, 6                                  // 000000005154: D2890052 00010D03
	s_and_b32 s82, s82, 0xffffff                               // 00000000515C: 8652FF52 00FFFFFF
	s_cmp_lt_u32 s82, s66                                      // 000000005164: BF0A4252
	s_cselect_b32 s20, s36, s60                                // 000000005168: 85143C24
	v_readlane_b32 s82, v3, 7                                  // 00000000516C: D2890052 00010F03
	s_and_b32 s82, s82, 0xffffff                               // 000000005174: 8652FF52 00FFFFFF
	s_cmp_lt_u32 s82, s66                                      // 00000000517C: BF0A4252
	s_cselect_b32 s21, s36, s60                                // 000000005180: 85153C24
	s_mov_b64 exec, s[20:21]                                   // 000000005184: BEFE0114
	global_atomic_add_f32 v6, v71, s[8:9] offset:8             // 000000005188: DD348008 00084706
	s_mov_b64 exec, s[36:37]                                   // 000000005190: BEFE0124
	v_mov_b32_e32 v6, v46                                      // 000000005194: 7E0C032E
	s_mov_b64 s[60:61], 0                                      // 000000005198: BEBC0180
	v_readlane_b32 s82, v3, 8                                  // 00000000519C: D2890052 00011103
	s_and_b32 s82, s82, 0xffffff                               // 0000000051A4: 8652FF52 00FFFFFF
	s_cmp_lt_u32 s82, s66                                      // 0000000051AC: BF0A4252
	s_cselect_b32 s20, s36, s60                                // 0000000051B0: 85143C24
	v_readlane_b32 s82, v3, 9                                  // 0000000051B4: D2890052 00011303
	s_and_b32 s82, s82, 0xffffff                               // 0000000051BC: 8652FF52 00FFFFFF
	s_cmp_lt_u32 s82, s66                                      // 0000000051C4: BF0A4252
	s_cselect_b32 s21, s36, s60                                // 0000000051C8: 85153C24
	s_mov_b64 exec, s[20:21]                                   // 0000000051CC: BEFE0114
	global_atomic_add_f32 v6, v74, s[8:9] offset:8             // 0000000051D0: DD348008 00084A06
	s_mov_b64 exec, s[36:37]                                   // 0000000051D8: BEFE0124
	v_mov_b32_e32 v6, v47                                      // 0000000051DC: 7E0C032F
	s_mov_b64 s[60:61], 0                                      // 0000000051E0: BEBC0180
	v_readlane_b32 s82, v3, 10                                 // 0000000051E4: D2890052 00011503
	s_and_b32 s82, s82, 0xffffff                               // 0000000051EC: 8652FF52 00FFFFFF
	s_cmp_lt_u32 s82, s66                                      // 0000000051F4: BF0A4252
	s_cselect_b32 s20, s36, s60                                // 0000000051F8: 85143C24
	v_readlane_b32 s82, v3, 11                                 // 0000000051FC: D2890052 00011703
	s_and_b32 s82, s82, 0xffffff                               // 000000005204: 8652FF52 00FFFFFF
	s_cmp_lt_u32 s82, s66                                      // 00000000520C: BF0A4252
	s_cselect_b32 s21, s36, s60                                // 000000005210: 85153C24
	s_mov_b64 exec, s[20:21]                                   // 000000005214: BEFE0114
	global_atomic_add_f32 v6, v75, s[8:9] offset:8             // 000000005218: DD348008 00084B06
	s_mov_b64 exec, s[36:37]                                   // 000000005220: BEFE0124
	s_branch label_1208                                        // 000000005224: BF8207FB

0000000000005228 <label_0A0D>:
	s_waitcnt vmcnt(8) lgkmcnt(0)                              // 000000005228: BF8C0078
	v_mfma_f32_16x16x32_fp8_fp8 v[52:55], a[48:49], a[0:1], v[52:55]// 00000000522C: D3F30034 1CD20130
	buffer_load_dwordx4 a[64:67], v48, s[24:27], 0 offen       // 000000005234: E05C1000 80864030
	v_mfma_f32_16x16x32_fp8_fp8 v[52:55], a[50:51], a[2:3], v[52:55]// 00000000523C: D3F30034 1CD20532
	v_mfma_f32_16x16x32_fp8_fp8 v[52:55], a[52:53], a[4:5], v[52:55]// 000000005244: D3F30034 1CD20934
	v_mfma_f32_16x16x32_fp8_fp8 v[52:55], a[54:55], a[6:7], v[52:55]// 00000000524C: D3F30034 1CD20D36
	v_mfma_f32_16x16x32_fp8_fp8 v[56:59], a[48:49], a[8:9], v[56:59]// 000000005254: D3F30038 1CE21130
	buffer_load_dwordx4 a[68:71], v48, s[24:27], 0 offen offset:1024// 00000000525C: E05C1400 80864430
	buffer_load_dword v42, s[20:23], 0 offen lds               // 000000005264: E0511000 8005002A
	s_add_u32 m0, 0x100, s50                                   // 00000000526C: 807C32FF 00000100
	v_mfma_f32_16x16x32_fp8_fp8 v[56:59], a[50:51], a[10:11], v[56:59]// 000000005274: D3F30038 1CE21532
	v_mfma_f32_16x16x32_fp8_fp8 v[56:59], a[52:53], a[12:13], v[56:59]// 00000000527C: D3F30038 1CE21934
	buffer_load_dword v43, s[20:23], 0 offen lds               // 000000005284: E0511000 8005002B
	s_add_u32 m0, 0x200, s50                                   // 00000000528C: 807C32FF 00000200
	v_mfma_f32_16x16x32_fp8_fp8 v[56:59], a[54:55], a[14:15], v[56:59]// 000000005294: D3F30038 1CE21D36
	v_mfma_f32_16x16x32_fp8_fp8 v[60:63], a[48:49], a[16:17], v[60:63]// 00000000529C: D3F3003C 1CF22130
	buffer_load_dword v44, s[20:23], 0 offen lds               // 0000000052A4: E0511000 8005002C
	s_add_u32 m0, 0x300, s50                                   // 0000000052AC: 807C32FF 00000300
	v_mfma_f32_16x16x32_fp8_fp8 v[60:63], a[50:51], a[18:19], v[60:63]// 0000000052B4: D3F3003C 1CF22532
	v_mfma_f32_16x16x32_fp8_fp8 v[60:63], a[52:53], a[20:21], v[60:63]// 0000000052BC: D3F3003C 1CF22934
	buffer_load_dword v45, s[20:23], 0 offen lds               // 0000000052C4: E0511000 8005002D
	s_add_u32 m0, 0x400, s50                                   // 0000000052CC: 807C32FF 00000400
	v_mfma_f32_16x16x32_fp8_fp8 v[60:63], a[54:55], a[22:23], v[60:63]// 0000000052D4: D3F3003C 1CF22D36
	buffer_load_dword v46, s[20:23], 0 offen lds               // 0000000052DC: E0511000 8005002E
	s_add_u32 m0, 0x500, s50                                   // 0000000052E4: 807C32FF 00000500
	buffer_load_dword v47, s[20:23], 0 offen lds               // 0000000052EC: E0511000 8005002F
	s_add_u32 m0, 0, s48                                       // 0000000052F4: 807C3080
	s_waitcnt vmcnt(8)                                         // 0000000052F8: BF8C0F78
	s_barrier                                                  // 0000000052FC: BF8A0000
	v_mfma_f32_16x16x32_fp8_fp8 v[64:67], a[56:57], a[0:1], v[64:67]// 000000005300: D3F30040 1D020138
	buffer_load_dwordx4 a[48:51], v48, s[84:87], 0 offen       // 000000005308: E05C1000 80953030
	v_mfma_f32_16x16x32_fp8_fp8 v[64:67], a[58:59], a[2:3], v[64:67]// 000000005310: D3F30040 1D02053A
	v_mfma_f32_16x16x32_fp8_fp8 v[64:67], a[60:61], a[4:5], v[64:67]// 000000005318: D3F30040 1D02093C
	ds_read_b128 a[24:27], v2 offset:6272                      // 000000005320: DBFE1880 18000002
	ds_read_b128 a[28:31], v2 offset:6336                      // 000000005328: DBFE18C0 1C000002
	v_mfma_f32_16x16x32_fp8_fp8 v[64:67], a[62:63], a[6:7], v[64:67]// 000000005330: D3F30040 1D020D3E
	v_mfma_f32_16x16x32_fp8_fp8 v[68:71], a[56:57], a[8:9], v[68:71]// 000000005338: D3F30044 1D121138
	buffer_load_dwordx4 a[52:55], v48, s[84:87], 0 offen offset:1024// 000000005340: E05C1400 80953430
	s_add_u32 s60, 0x180, s80                                  // 000000005348: 803C50FF 00000180
	s_cmp_lt_u32 s60, s81                                      // 000000005350: BF0A513C
	s_cselect_b32 s57, s57, 0                                  // 000000005354: 85398039
	v_mfma_f32_16x16x32_fp8_fp8 v[68:71], a[58:59], a[10:11], v[68:71]// 000000005358: D3F30044 1D12153A
	s_add_u32 s60, 0x100, s80                                  // 000000005360: 803C50FF 00000100
	s_cmp_lt_u32 s60, s81                                      // 000000005368: BF0A513C
	s_cselect_b32 s58, s58, 0                                  // 00000000536C: 853A803A
	v_mfma_f32_16x16x32_fp8_fp8 v[68:71], a[60:61], a[12:13], v[68:71]// 000000005370: D3F30044 1D12193C
	ds_read_b128 a[32:35], v2 offset:6784                      // 000000005378: DBFE1A80 20000002
	ds_read_b128 a[36:39], v2 offset:6848                      // 000000005380: DBFE1AC0 24000002
	s_add_u32 s60, 0x100, s80                                  // 000000005388: 803C50FF 00000100
	s_cmp_lt_u32 s60, s81                                      // 000000005390: BF0A513C
	s_cselect_b32 s83, s83, 0                                  // 000000005394: 85538053
	v_mfma_f32_16x16x32_fp8_fp8 v[68:71], a[62:63], a[14:15], v[68:71]// 000000005398: D3F30044 1D121D3E
	s_add_u32 s24, s58, s24                                    // 0000000053A0: 8018183A
	s_addc_u32 s25, 0, s25                                     // 0000000053A4: 82191980
	v_mfma_f32_16x16x32_fp8_fp8 v[72:75], a[56:57], a[16:17], v[72:75]// 0000000053A8: D3F30048 1D222138
	s_add_u32 s20, s57, s20                                    // 0000000053B0: 80141439
	s_addc_u32 s21, 0, s21                                     // 0000000053B4: 82151580
	v_mfma_f32_16x16x32_fp8_fp8 v[72:75], a[58:59], a[18:19], v[72:75]// 0000000053B8: D3F30048 1D22253A
	s_add_u32 s84, s83, s84                                    // 0000000053C0: 80545453
	s_addc_u32 s85, 0, s85                                     // 0000000053C4: 82555580
	v_mfma_f32_16x16x32_fp8_fp8 v[72:75], a[60:61], a[20:21], v[72:75]// 0000000053C8: D3F30048 1D22293C
	ds_read_b128 a[40:43], v2 offset:7296                      // 0000000053D0: DBFE1C80 28000002
	ds_read_b128 a[44:47], v2 offset:7360                      // 0000000053D8: DBFE1CC0 2C000002
	v_mfma_f32_16x16x32_fp8_fp8 v[72:75], a[62:63], a[22:23], v[72:75]// 0000000053E0: D3F30048 1D222D3E
	s_addk_i32 s80, 0x80                                       // 0000000053E8: B7500080
	s_cmp_lt_i32 s80, s81                                      // 0000000053EC: BF045150
	s_cbranch_scc0 label_0CC0                                  // 0000000053F0: BF840240
	s_waitcnt vmcnt(8) lgkmcnt(0)                              // 0000000053F4: BF8C0078
	v_mfma_f32_16x16x32_fp8_fp8 v[52:55], a[64:65], a[24:25], v[52:55]// 0000000053F8: D3F30034 1CD23140
	buffer_load_dwordx4 a[56:59], v48, s[24:27], 0 offen       // 000000005400: E05C1000 80863830
	v_mfma_f32_16x16x32_fp8_fp8 v[52:55], a[66:67], a[26:27], v[52:55]// 000000005408: D3F30034 1CD23542
	v_mfma_f32_16x16x32_fp8_fp8 v[52:55], a[68:69], a[28:29], v[52:55]// 000000005410: D3F30034 1CD23944
	v_mfma_f32_16x16x32_fp8_fp8 v[52:55], a[70:71], a[30:31], v[52:55]// 000000005418: D3F30034 1CD23D46
	v_mfma_f32_16x16x32_fp8_fp8 v[56:59], a[64:65], a[32:33], v[56:59]// 000000005420: D3F30038 1CE24140
	buffer_load_dwordx4 a[60:63], v48, s[24:27], 0 offen offset:1024// 000000005428: E05C1400 80863C30
	buffer_load_dword v42, s[20:23], 0 offen lds               // 000000005430: E0511000 8005002A
	s_add_u32 m0, 0x100, s48                                   // 000000005438: 807C30FF 00000100
	v_mfma_f32_16x16x32_fp8_fp8 v[56:59], a[66:67], a[34:35], v[56:59]// 000000005440: D3F30038 1CE24542
	v_mfma_f32_16x16x32_fp8_fp8 v[56:59], a[68:69], a[36:37], v[56:59]// 000000005448: D3F30038 1CE24944
	buffer_load_dword v43, s[20:23], 0 offen lds               // 000000005450: E0511000 8005002B
	s_add_u32 m0, 0x200, s48                                   // 000000005458: 807C30FF 00000200
	v_mfma_f32_16x16x32_fp8_fp8 v[56:59], a[70:71], a[38:39], v[56:59]// 000000005460: D3F30038 1CE24D46
	v_mfma_f32_16x16x32_fp8_fp8 v[60:63], a[64:65], a[40:41], v[60:63]// 000000005468: D3F3003C 1CF25140
	buffer_load_dword v44, s[20:23], 0 offen lds               // 000000005470: E0511000 8005002C
	s_add_u32 m0, 0x300, s48                                   // 000000005478: 807C30FF 00000300
	v_mfma_f32_16x16x32_fp8_fp8 v[60:63], a[66:67], a[42:43], v[60:63]// 000000005480: D3F3003C 1CF25542
	v_mfma_f32_16x16x32_fp8_fp8 v[60:63], a[68:69], a[44:45], v[60:63]// 000000005488: D3F3003C 1CF25944
	buffer_load_dword v45, s[20:23], 0 offen lds               // 000000005490: E0511000 8005002D
	s_add_u32 m0, 0x400, s48                                   // 000000005498: 807C30FF 00000400
	v_mfma_f32_16x16x32_fp8_fp8 v[60:63], a[70:71], a[46:47], v[60:63]// 0000000054A0: D3F3003C 1CF25D46
	buffer_load_dword v46, s[20:23], 0 offen lds               // 0000000054A8: E0511000 8005002E
	s_add_u32 m0, 0x500, s48                                   // 0000000054B0: 807C30FF 00000500
	buffer_load_dword v47, s[20:23], 0 offen lds               // 0000000054B8: E0511000 8005002F
	s_add_u32 m0, 0, s49                                       // 0000000054C0: 807C3180
	s_waitcnt vmcnt(8)                                         // 0000000054C4: BF8C0F78
	s_barrier                                                  // 0000000054C8: BF8A0000
	v_mfma_f32_16x16x32_fp8_fp8 v[64:67], a[48:49], a[24:25], v[64:67]// 0000000054CC: D3F30040 1D023130
	buffer_load_dwordx4 a[64:67], v48, s[84:87], 0 offen       // 0000000054D4: E05C1000 80954030
	v_mfma_f32_16x16x32_fp8_fp8 v[64:67], a[50:51], a[26:27], v[64:67]// 0000000054DC: D3F30040 1D023532
	v_mfma_f32_16x16x32_fp8_fp8 v[64:67], a[52:53], a[28:29], v[64:67]// 0000000054E4: D3F30040 1D023934
	ds_read_b128 a[0:3], v2 offset:12544                       // 0000000054EC: DBFE3100 00000002
	ds_read_b128 a[4:7], v2 offset:12608                       // 0000000054F4: DBFE3140 04000002
	v_mfma_f32_16x16x32_fp8_fp8 v[64:67], a[54:55], a[30:31], v[64:67]// 0000000054FC: D3F30040 1D023D36
	v_mfma_f32_16x16x32_fp8_fp8 v[68:71], a[48:49], a[32:33], v[68:71]// 000000005504: D3F30044 1D124130
	buffer_load_dwordx4 a[68:71], v48, s[84:87], 0 offen offset:1024// 00000000550C: E05C1400 80954430
	s_add_u32 s60, 0x180, s80                                  // 000000005514: 803C50FF 00000180
	s_cmp_lt_u32 s60, s81                                      // 00000000551C: BF0A513C
	s_cselect_b32 s57, s57, 0                                  // 000000005520: 85398039
	v_mfma_f32_16x16x32_fp8_fp8 v[68:71], a[50:51], a[34:35], v[68:71]// 000000005524: D3F30044 1D124532
	s_add_u32 s60, 0x100, s80                                  // 00000000552C: 803C50FF 00000100
	s_cmp_lt_u32 s60, s81                                      // 000000005534: BF0A513C
	s_cselect_b32 s58, s58, 0                                  // 000000005538: 853A803A
	v_mfma_f32_16x16x32_fp8_fp8 v[68:71], a[52:53], a[36:37], v[68:71]// 00000000553C: D3F30044 1D124934
	ds_read_b128 a[8:11], v2 offset:13056                      // 000000005544: DBFE3300 08000002
	ds_read_b128 a[12:15], v2 offset:13120                     // 00000000554C: DBFE3340 0C000002
	s_add_u32 s60, 0x100, s80                                  // 000000005554: 803C50FF 00000100
	s_cmp_lt_u32 s60, s81                                      // 00000000555C: BF0A513C
	s_cselect_b32 s83, s83, 0                                  // 000000005560: 85538053
	v_mfma_f32_16x16x32_fp8_fp8 v[68:71], a[54:55], a[38:39], v[68:71]// 000000005564: D3F30044 1D124D36
	s_add_u32 s24, s58, s24                                    // 00000000556C: 8018183A
	s_addc_u32 s25, 0, s25                                     // 000000005570: 82191980
	v_mfma_f32_16x16x32_fp8_fp8 v[72:75], a[48:49], a[40:41], v[72:75]// 000000005574: D3F30048 1D225130
	s_add_u32 s20, s57, s20                                    // 00000000557C: 80141439
	s_addc_u32 s21, 0, s21                                     // 000000005580: 82151580
	v_mfma_f32_16x16x32_fp8_fp8 v[72:75], a[50:51], a[42:43], v[72:75]// 000000005584: D3F30048 1D225532
	s_add_u32 s84, s83, s84                                    // 00000000558C: 80545453
	s_addc_u32 s85, 0, s85                                     // 000000005590: 82555580
	v_mfma_f32_16x16x32_fp8_fp8 v[72:75], a[52:53], a[44:45], v[72:75]// 000000005594: D3F30048 1D225934
	ds_read_b128 a[16:19], v2 offset:13568                     // 00000000559C: DBFE3500 10000002
	ds_read_b128 a[20:23], v2 offset:13632                     // 0000000055A4: DBFE3540 14000002
	v_mfma_f32_16x16x32_fp8_fp8 v[72:75], a[54:55], a[46:47], v[72:75]// 0000000055AC: D3F30048 1D225D36
	s_addk_i32 s80, 0x80                                       // 0000000055B4: B7500080
	s_cmp_lt_i32 s80, s81                                      // 0000000055B8: BF045150
	s_cbranch_scc0 label_0CC0                                  // 0000000055BC: BF8401CD
	s_waitcnt vmcnt(8) lgkmcnt(0)                              // 0000000055C0: BF8C0078
	v_mfma_f32_16x16x32_fp8_fp8 v[52:55], a[56:57], a[0:1], v[52:55]// 0000000055C4: D3F30034 1CD20138
	buffer_load_dwordx4 a[48:51], v48, s[24:27], 0 offen       // 0000000055CC: E05C1000 80863030
	v_mfma_f32_16x16x32_fp8_fp8 v[52:55], a[58:59], a[2:3], v[52:55]// 0000000055D4: D3F30034 1CD2053A
	v_mfma_f32_16x16x32_fp8_fp8 v[52:55], a[60:61], a[4:5], v[52:55]// 0000000055DC: D3F30034 1CD2093C
	v_mfma_f32_16x16x32_fp8_fp8 v[52:55], a[62:63], a[6:7], v[52:55]// 0000000055E4: D3F30034 1CD20D3E
	v_mfma_f32_16x16x32_fp8_fp8 v[56:59], a[56:57], a[8:9], v[56:59]// 0000000055EC: D3F30038 1CE21138
	buffer_load_dwordx4 a[52:55], v48, s[24:27], 0 offen offset:1024// 0000000055F4: E05C1400 80863430
	buffer_load_dword v42, s[20:23], 0 offen lds               // 0000000055FC: E0511000 8005002A
	s_add_u32 m0, 0x100, s49                                   // 000000005604: 807C31FF 00000100
	v_mfma_f32_16x16x32_fp8_fp8 v[56:59], a[58:59], a[10:11], v[56:59]// 00000000560C: D3F30038 1CE2153A
	v_mfma_f32_16x16x32_fp8_fp8 v[56:59], a[60:61], a[12:13], v[56:59]// 000000005614: D3F30038 1CE2193C
	buffer_load_dword v43, s[20:23], 0 offen lds               // 00000000561C: E0511000 8005002B
	s_add_u32 m0, 0x200, s49                                   // 000000005624: 807C31FF 00000200
	v_mfma_f32_16x16x32_fp8_fp8 v[56:59], a[62:63], a[14:15], v[56:59]// 00000000562C: D3F30038 1CE21D3E
	v_mfma_f32_16x16x32_fp8_fp8 v[60:63], a[56:57], a[16:17], v[60:63]// 000000005634: D3F3003C 1CF22138
	buffer_load_dword v44, s[20:23], 0 offen lds               // 00000000563C: E0511000 8005002C
	s_add_u32 m0, 0x300, s49                                   // 000000005644: 807C31FF 00000300
	v_mfma_f32_16x16x32_fp8_fp8 v[60:63], a[58:59], a[18:19], v[60:63]// 00000000564C: D3F3003C 1CF2253A
	v_mfma_f32_16x16x32_fp8_fp8 v[60:63], a[60:61], a[20:21], v[60:63]// 000000005654: D3F3003C 1CF2293C
	buffer_load_dword v45, s[20:23], 0 offen lds               // 00000000565C: E0511000 8005002D
	s_add_u32 m0, 0x400, s49                                   // 000000005664: 807C31FF 00000400
	v_mfma_f32_16x16x32_fp8_fp8 v[60:63], a[62:63], a[22:23], v[60:63]// 00000000566C: D3F3003C 1CF22D3E
	buffer_load_dword v46, s[20:23], 0 offen lds               // 000000005674: E0511000 8005002E
	s_add_u32 m0, 0x500, s49                                   // 00000000567C: 807C31FF 00000500
	buffer_load_dword v47, s[20:23], 0 offen lds               // 000000005684: E0511000 8005002F
	s_add_u32 m0, 0, s50                                       // 00000000568C: 807C3280
	s_waitcnt vmcnt(8)                                         // 000000005690: BF8C0F78
	s_barrier                                                  // 000000005694: BF8A0000
	v_mfma_f32_16x16x32_fp8_fp8 v[64:67], a[64:65], a[0:1], v[64:67]// 000000005698: D3F30040 1D020140
	buffer_load_dwordx4 a[56:59], v48, s[84:87], 0 offen       // 0000000056A0: E05C1000 80953830
	v_mfma_f32_16x16x32_fp8_fp8 v[64:67], a[66:67], a[2:3], v[64:67]// 0000000056A8: D3F30040 1D020542
	v_mfma_f32_16x16x32_fp8_fp8 v[64:67], a[68:69], a[4:5], v[64:67]// 0000000056B0: D3F30040 1D020944
	ds_read_b128 a[24:27], v2                                  // 0000000056B8: DBFE0000 18000002
	ds_read_b128 a[28:31], v2 offset:64                        // 0000000056C0: DBFE0040 1C000002
	v_mfma_f32_16x16x32_fp8_fp8 v[64:67], a[70:71], a[6:7], v[64:67]// 0000000056C8: D3F30040 1D020D46
	v_mfma_f32_16x16x32_fp8_fp8 v[68:71], a[64:65], a[8:9], v[68:71]// 0000000056D0: D3F30044 1D121140
	buffer_load_dwordx4 a[60:63], v48, s[84:87], 0 offen offset:1024// 0000000056D8: E05C1400 80953C30
	s_add_u32 s60, 0x180, s80                                  // 0000000056E0: 803C50FF 00000180
	s_cmp_lt_u32 s60, s81                                      // 0000000056E8: BF0A513C
	s_cselect_b32 s57, s57, 0                                  // 0000000056EC: 85398039
	v_mfma_f32_16x16x32_fp8_fp8 v[68:71], a[66:67], a[10:11], v[68:71]// 0000000056F0: D3F30044 1D121542
	s_add_u32 s60, 0x100, s80                                  // 0000000056F8: 803C50FF 00000100
	s_cmp_lt_u32 s60, s81                                      // 000000005700: BF0A513C
	s_cselect_b32 s58, s58, 0                                  // 000000005704: 853A803A
	v_mfma_f32_16x16x32_fp8_fp8 v[68:71], a[68:69], a[12:13], v[68:71]// 000000005708: D3F30044 1D121944
	ds_read_b128 a[32:35], v2 offset:512                       // 000000005710: DBFE0200 20000002
	ds_read_b128 a[36:39], v2 offset:576                       // 000000005718: DBFE0240 24000002
	s_add_u32 s60, 0x100, s80                                  // 000000005720: 803C50FF 00000100
	s_cmp_lt_u32 s60, s81                                      // 000000005728: BF0A513C
	s_cselect_b32 s83, s83, 0                                  // 00000000572C: 85538053
	v_mfma_f32_16x16x32_fp8_fp8 v[68:71], a[70:71], a[14:15], v[68:71]// 000000005730: D3F30044 1D121D46
	s_add_u32 s24, s58, s24                                    // 000000005738: 8018183A
	s_addc_u32 s25, 0, s25                                     // 00000000573C: 82191980
	v_mfma_f32_16x16x32_fp8_fp8 v[72:75], a[64:65], a[16:17], v[72:75]// 000000005740: D3F30048 1D222140
	s_add_u32 s20, s57, s20                                    // 000000005748: 80141439
	s_addc_u32 s21, 0, s21                                     // 00000000574C: 82151580
	v_mfma_f32_16x16x32_fp8_fp8 v[72:75], a[66:67], a[18:19], v[72:75]// 000000005750: D3F30048 1D222542
	s_add_u32 s84, s83, s84                                    // 000000005758: 80545453
	s_addc_u32 s85, 0, s85                                     // 00000000575C: 82555580
	v_mfma_f32_16x16x32_fp8_fp8 v[72:75], a[68:69], a[20:21], v[72:75]// 000000005760: D3F30048 1D222944
	ds_read_b128 a[40:43], v2 offset:1024                      // 000000005768: DBFE0400 28000002
	ds_read_b128 a[44:47], v2 offset:1088                      // 000000005770: DBFE0440 2C000002
	v_mfma_f32_16x16x32_fp8_fp8 v[72:75], a[70:71], a[22:23], v[72:75]// 000000005778: D3F30048 1D222D46
	s_addk_i32 s80, 0x80                                       // 000000005780: B7500080
	s_cmp_lt_i32 s80, s81                                      // 000000005784: BF045150
	s_cbranch_scc0 label_0CC0                                  // 000000005788: BF84015A
	s_waitcnt vmcnt(8) lgkmcnt(0)                              // 00000000578C: BF8C0078
	v_mfma_f32_16x16x32_fp8_fp8 v[52:55], a[48:49], a[24:25], v[52:55]// 000000005790: D3F30034 1CD23130
	buffer_load_dwordx4 a[64:67], v48, s[24:27], 0 offen       // 000000005798: E05C1000 80864030
	v_mfma_f32_16x16x32_fp8_fp8 v[52:55], a[50:51], a[26:27], v[52:55]// 0000000057A0: D3F30034 1CD23532
	v_mfma_f32_16x16x32_fp8_fp8 v[52:55], a[52:53], a[28:29], v[52:55]// 0000000057A8: D3F30034 1CD23934
	v_mfma_f32_16x16x32_fp8_fp8 v[52:55], a[54:55], a[30:31], v[52:55]// 0000000057B0: D3F30034 1CD23D36
	v_mfma_f32_16x16x32_fp8_fp8 v[56:59], a[48:49], a[32:33], v[56:59]// 0000000057B8: D3F30038 1CE24130
	buffer_load_dwordx4 a[68:71], v48, s[24:27], 0 offen offset:1024// 0000000057C0: E05C1400 80864430
	buffer_load_dword v42, s[20:23], 0 offen lds               // 0000000057C8: E0511000 8005002A
	s_add_u32 m0, 0x100, s50                                   // 0000000057D0: 807C32FF 00000100
	v_mfma_f32_16x16x32_fp8_fp8 v[56:59], a[50:51], a[34:35], v[56:59]// 0000000057D8: D3F30038 1CE24532
	v_mfma_f32_16x16x32_fp8_fp8 v[56:59], a[52:53], a[36:37], v[56:59]// 0000000057E0: D3F30038 1CE24934
	buffer_load_dword v43, s[20:23], 0 offen lds               // 0000000057E8: E0511000 8005002B
	s_add_u32 m0, 0x200, s50                                   // 0000000057F0: 807C32FF 00000200
	v_mfma_f32_16x16x32_fp8_fp8 v[56:59], a[54:55], a[38:39], v[56:59]// 0000000057F8: D3F30038 1CE24D36
	v_mfma_f32_16x16x32_fp8_fp8 v[60:63], a[48:49], a[40:41], v[60:63]// 000000005800: D3F3003C 1CF25130
	buffer_load_dword v44, s[20:23], 0 offen lds               // 000000005808: E0511000 8005002C
	s_add_u32 m0, 0x300, s50                                   // 000000005810: 807C32FF 00000300
	v_mfma_f32_16x16x32_fp8_fp8 v[60:63], a[50:51], a[42:43], v[60:63]// 000000005818: D3F3003C 1CF25532
	v_mfma_f32_16x16x32_fp8_fp8 v[60:63], a[52:53], a[44:45], v[60:63]// 000000005820: D3F3003C 1CF25934
	buffer_load_dword v45, s[20:23], 0 offen lds               // 000000005828: E0511000 8005002D
	s_add_u32 m0, 0x400, s50                                   // 000000005830: 807C32FF 00000400
	v_mfma_f32_16x16x32_fp8_fp8 v[60:63], a[54:55], a[46:47], v[60:63]// 000000005838: D3F3003C 1CF25D36
	buffer_load_dword v46, s[20:23], 0 offen lds               // 000000005840: E0511000 8005002E
	s_add_u32 m0, 0x500, s50                                   // 000000005848: 807C32FF 00000500
	buffer_load_dword v47, s[20:23], 0 offen lds               // 000000005850: E0511000 8005002F
	s_add_u32 m0, 0, s48                                       // 000000005858: 807C3080
	s_waitcnt vmcnt(8)                                         // 00000000585C: BF8C0F78
	s_barrier                                                  // 000000005860: BF8A0000
	v_mfma_f32_16x16x32_fp8_fp8 v[64:67], a[56:57], a[24:25], v[64:67]// 000000005864: D3F30040 1D023138
	buffer_load_dwordx4 a[48:51], v48, s[84:87], 0 offen       // 00000000586C: E05C1000 80953030
	v_mfma_f32_16x16x32_fp8_fp8 v[64:67], a[58:59], a[26:27], v[64:67]// 000000005874: D3F30040 1D02353A
	v_mfma_f32_16x16x32_fp8_fp8 v[64:67], a[60:61], a[28:29], v[64:67]// 00000000587C: D3F30040 1D02393C
	ds_read_b128 a[0:3], v2 offset:6272                        // 000000005884: DBFE1880 00000002
	ds_read_b128 a[4:7], v2 offset:6336                        // 00000000588C: DBFE18C0 04000002
	v_mfma_f32_16x16x32_fp8_fp8 v[64:67], a[62:63], a[30:31], v[64:67]// 000000005894: D3F30040 1D023D3E
	v_mfma_f32_16x16x32_fp8_fp8 v[68:71], a[56:57], a[32:33], v[68:71]// 00000000589C: D3F30044 1D124138
	buffer_load_dwordx4 a[52:55], v48, s[84:87], 0 offen offset:1024// 0000000058A4: E05C1400 80953430
	s_add_u32 s60, 0x180, s80                                  // 0000000058AC: 803C50FF 00000180
	s_cmp_lt_u32 s60, s81                                      // 0000000058B4: BF0A513C
	s_cselect_b32 s57, s57, 0                                  // 0000000058B8: 85398039
	v_mfma_f32_16x16x32_fp8_fp8 v[68:71], a[58:59], a[34:35], v[68:71]// 0000000058BC: D3F30044 1D12453A
	s_add_u32 s60, 0x100, s80                                  // 0000000058C4: 803C50FF 00000100
	s_cmp_lt_u32 s60, s81                                      // 0000000058CC: BF0A513C
	s_cselect_b32 s58, s58, 0                                  // 0000000058D0: 853A803A
	v_mfma_f32_16x16x32_fp8_fp8 v[68:71], a[60:61], a[36:37], v[68:71]// 0000000058D4: D3F30044 1D12493C
	ds_read_b128 a[8:11], v2 offset:6784                       // 0000000058DC: DBFE1A80 08000002
	ds_read_b128 a[12:15], v2 offset:6848                      // 0000000058E4: DBFE1AC0 0C000002
	s_add_u32 s60, 0x100, s80                                  // 0000000058EC: 803C50FF 00000100
	s_cmp_lt_u32 s60, s81                                      // 0000000058F4: BF0A513C
	s_cselect_b32 s83, s83, 0                                  // 0000000058F8: 85538053
	v_mfma_f32_16x16x32_fp8_fp8 v[68:71], a[62:63], a[38:39], v[68:71]// 0000000058FC: D3F30044 1D124D3E
	s_add_u32 s24, s58, s24                                    // 000000005904: 8018183A
	s_addc_u32 s25, 0, s25                                     // 000000005908: 82191980
	v_mfma_f32_16x16x32_fp8_fp8 v[72:75], a[56:57], a[40:41], v[72:75]// 00000000590C: D3F30048 1D225138
	s_add_u32 s20, s57, s20                                    // 000000005914: 80141439
	s_addc_u32 s21, 0, s21                                     // 000000005918: 82151580
	v_mfma_f32_16x16x32_fp8_fp8 v[72:75], a[58:59], a[42:43], v[72:75]// 00000000591C: D3F30048 1D22553A
	s_add_u32 s84, s83, s84                                    // 000000005924: 80545453
	s_addc_u32 s85, 0, s85                                     // 000000005928: 82555580
	v_mfma_f32_16x16x32_fp8_fp8 v[72:75], a[60:61], a[44:45], v[72:75]// 00000000592C: D3F30048 1D22593C
	ds_read_b128 a[16:19], v2 offset:7296                      // 000000005934: DBFE1C80 10000002
	ds_read_b128 a[20:23], v2 offset:7360                      // 00000000593C: DBFE1CC0 14000002
	v_mfma_f32_16x16x32_fp8_fp8 v[72:75], a[62:63], a[46:47], v[72:75]// 000000005944: D3F30048 1D225D3E
	s_addk_i32 s80, 0x80                                       // 00000000594C: B7500080
	s_cmp_lt_i32 s80, s81                                      // 000000005950: BF045150
	s_cbranch_scc0 label_0CC0                                  // 000000005954: BF8400E7
	s_waitcnt vmcnt(8) lgkmcnt(0)                              // 000000005958: BF8C0078
	v_mfma_f32_16x16x32_fp8_fp8 v[52:55], a[64:65], a[0:1], v[52:55]// 00000000595C: D3F30034 1CD20140
	buffer_load_dwordx4 a[56:59], v48, s[24:27], 0 offen       // 000000005964: E05C1000 80863830
	v_mfma_f32_16x16x32_fp8_fp8 v[52:55], a[66:67], a[2:3], v[52:55]// 00000000596C: D3F30034 1CD20542
	v_mfma_f32_16x16x32_fp8_fp8 v[52:55], a[68:69], a[4:5], v[52:55]// 000000005974: D3F30034 1CD20944
	v_mfma_f32_16x16x32_fp8_fp8 v[52:55], a[70:71], a[6:7], v[52:55]// 00000000597C: D3F30034 1CD20D46
	v_mfma_f32_16x16x32_fp8_fp8 v[56:59], a[64:65], a[8:9], v[56:59]// 000000005984: D3F30038 1CE21140
	buffer_load_dwordx4 a[60:63], v48, s[24:27], 0 offen offset:1024// 00000000598C: E05C1400 80863C30
	buffer_load_dword v42, s[20:23], 0 offen lds               // 000000005994: E0511000 8005002A
	s_add_u32 m0, 0x100, s48                                   // 00000000599C: 807C30FF 00000100
	v_mfma_f32_16x16x32_fp8_fp8 v[56:59], a[66:67], a[10:11], v[56:59]// 0000000059A4: D3F30038 1CE21542
	v_mfma_f32_16x16x32_fp8_fp8 v[56:59], a[68:69], a[12:13], v[56:59]// 0000000059AC: D3F30038 1CE21944
	buffer_load_dword v43, s[20:23], 0 offen lds               // 0000000059B4: E0511000 8005002B
	s_add_u32 m0, 0x200, s48                                   // 0000000059BC: 807C30FF 00000200
	v_mfma_f32_16x16x32_fp8_fp8 v[56:59], a[70:71], a[14:15], v[56:59]// 0000000059C4: D3F30038 1CE21D46
	v_mfma_f32_16x16x32_fp8_fp8 v[60:63], a[64:65], a[16:17], v[60:63]// 0000000059CC: D3F3003C 1CF22140
	buffer_load_dword v44, s[20:23], 0 offen lds               // 0000000059D4: E0511000 8005002C
	s_add_u32 m0, 0x300, s48                                   // 0000000059DC: 807C30FF 00000300
	v_mfma_f32_16x16x32_fp8_fp8 v[60:63], a[66:67], a[18:19], v[60:63]// 0000000059E4: D3F3003C 1CF22542
	v_mfma_f32_16x16x32_fp8_fp8 v[60:63], a[68:69], a[20:21], v[60:63]// 0000000059EC: D3F3003C 1CF22944
	buffer_load_dword v45, s[20:23], 0 offen lds               // 0000000059F4: E0511000 8005002D
	s_add_u32 m0, 0x400, s48                                   // 0000000059FC: 807C30FF 00000400
	v_mfma_f32_16x16x32_fp8_fp8 v[60:63], a[70:71], a[22:23], v[60:63]// 000000005A04: D3F3003C 1CF22D46
	buffer_load_dword v46, s[20:23], 0 offen lds               // 000000005A0C: E0511000 8005002E
	s_add_u32 m0, 0x500, s48                                   // 000000005A14: 807C30FF 00000500
	buffer_load_dword v47, s[20:23], 0 offen lds               // 000000005A1C: E0511000 8005002F
	s_add_u32 m0, 0, s49                                       // 000000005A24: 807C3180
	s_waitcnt vmcnt(8)                                         // 000000005A28: BF8C0F78
	s_barrier                                                  // 000000005A2C: BF8A0000
	v_mfma_f32_16x16x32_fp8_fp8 v[64:67], a[48:49], a[0:1], v[64:67]// 000000005A30: D3F30040 1D020130
	buffer_load_dwordx4 a[64:67], v48, s[84:87], 0 offen       // 000000005A38: E05C1000 80954030
	v_mfma_f32_16x16x32_fp8_fp8 v[64:67], a[50:51], a[2:3], v[64:67]// 000000005A40: D3F30040 1D020532
	v_mfma_f32_16x16x32_fp8_fp8 v[64:67], a[52:53], a[4:5], v[64:67]// 000000005A48: D3F30040 1D020934
	ds_read_b128 a[24:27], v2 offset:12544                     // 000000005A50: DBFE3100 18000002
	ds_read_b128 a[28:31], v2 offset:12608                     // 000000005A58: DBFE3140 1C000002
	v_mfma_f32_16x16x32_fp8_fp8 v[64:67], a[54:55], a[6:7], v[64:67]// 000000005A60: D3F30040 1D020D36
	v_mfma_f32_16x16x32_fp8_fp8 v[68:71], a[48:49], a[8:9], v[68:71]// 000000005A68: D3F30044 1D121130
	buffer_load_dwordx4 a[68:71], v48, s[84:87], 0 offen offset:1024// 000000005A70: E05C1400 80954430
	s_add_u32 s60, 0x180, s80                                  // 000000005A78: 803C50FF 00000180
	s_cmp_lt_u32 s60, s81                                      // 000000005A80: BF0A513C
	s_cselect_b32 s57, s57, 0                                  // 000000005A84: 85398039
	v_mfma_f32_16x16x32_fp8_fp8 v[68:71], a[50:51], a[10:11], v[68:71]// 000000005A88: D3F30044 1D121532
	s_add_u32 s60, 0x100, s80                                  // 000000005A90: 803C50FF 00000100
	s_cmp_lt_u32 s60, s81                                      // 000000005A98: BF0A513C
	s_cselect_b32 s58, s58, 0                                  // 000000005A9C: 853A803A
	v_mfma_f32_16x16x32_fp8_fp8 v[68:71], a[52:53], a[12:13], v[68:71]// 000000005AA0: D3F30044 1D121934
	ds_read_b128 a[32:35], v2 offset:13056                     // 000000005AA8: DBFE3300 20000002
	ds_read_b128 a[36:39], v2 offset:13120                     // 000000005AB0: DBFE3340 24000002
	s_add_u32 s60, 0x100, s80                                  // 000000005AB8: 803C50FF 00000100
	s_cmp_lt_u32 s60, s81                                      // 000000005AC0: BF0A513C
	s_cselect_b32 s83, s83, 0                                  // 000000005AC4: 85538053
	v_mfma_f32_16x16x32_fp8_fp8 v[68:71], a[54:55], a[14:15], v[68:71]// 000000005AC8: D3F30044 1D121D36
	s_add_u32 s24, s58, s24                                    // 000000005AD0: 8018183A
	s_addc_u32 s25, 0, s25                                     // 000000005AD4: 82191980
	v_mfma_f32_16x16x32_fp8_fp8 v[72:75], a[48:49], a[16:17], v[72:75]// 000000005AD8: D3F30048 1D222130
	s_add_u32 s20, s57, s20                                    // 000000005AE0: 80141439
	s_addc_u32 s21, 0, s21                                     // 000000005AE4: 82151580
	v_mfma_f32_16x16x32_fp8_fp8 v[72:75], a[50:51], a[18:19], v[72:75]// 000000005AE8: D3F30048 1D222532
	s_add_u32 s84, s83, s84                                    // 000000005AF0: 80545453
	s_addc_u32 s85, 0, s85                                     // 000000005AF4: 82555580
	v_mfma_f32_16x16x32_fp8_fp8 v[72:75], a[52:53], a[20:21], v[72:75]// 000000005AF8: D3F30048 1D222934
	ds_read_b128 a[40:43], v2 offset:13568                     // 000000005B00: DBFE3500 28000002
	ds_read_b128 a[44:47], v2 offset:13632                     // 000000005B08: DBFE3540 2C000002
	v_mfma_f32_16x16x32_fp8_fp8 v[72:75], a[54:55], a[22:23], v[72:75]// 000000005B10: D3F30048 1D222D36
	s_addk_i32 s80, 0x80                                       // 000000005B18: B7500080
	s_cmp_lt_i32 s80, s81                                      // 000000005B1C: BF045150
	s_cbranch_scc0 label_0CC0                                  // 000000005B20: BF840074
	s_waitcnt vmcnt(8) lgkmcnt(0)                              // 000000005B24: BF8C0078
	v_mfma_f32_16x16x32_fp8_fp8 v[52:55], a[56:57], a[24:25], v[52:55]// 000000005B28: D3F30034 1CD23138
	buffer_load_dwordx4 a[48:51], v48, s[24:27], 0 offen       // 000000005B30: E05C1000 80863030
	v_mfma_f32_16x16x32_fp8_fp8 v[52:55], a[58:59], a[26:27], v[52:55]// 000000005B38: D3F30034 1CD2353A
	v_mfma_f32_16x16x32_fp8_fp8 v[52:55], a[60:61], a[28:29], v[52:55]// 000000005B40: D3F30034 1CD2393C
	v_mfma_f32_16x16x32_fp8_fp8 v[52:55], a[62:63], a[30:31], v[52:55]// 000000005B48: D3F30034 1CD23D3E
	v_mfma_f32_16x16x32_fp8_fp8 v[56:59], a[56:57], a[32:33], v[56:59]// 000000005B50: D3F30038 1CE24138
	buffer_load_dwordx4 a[52:55], v48, s[24:27], 0 offen offset:1024// 000000005B58: E05C1400 80863430
	buffer_load_dword v42, s[20:23], 0 offen lds               // 000000005B60: E0511000 8005002A
	s_add_u32 m0, 0x100, s49                                   // 000000005B68: 807C31FF 00000100
	v_mfma_f32_16x16x32_fp8_fp8 v[56:59], a[58:59], a[34:35], v[56:59]// 000000005B70: D3F30038 1CE2453A
	v_mfma_f32_16x16x32_fp8_fp8 v[56:59], a[60:61], a[36:37], v[56:59]// 000000005B78: D3F30038 1CE2493C
	buffer_load_dword v43, s[20:23], 0 offen lds               // 000000005B80: E0511000 8005002B
	s_add_u32 m0, 0x200, s49                                   // 000000005B88: 807C31FF 00000200
	v_mfma_f32_16x16x32_fp8_fp8 v[56:59], a[62:63], a[38:39], v[56:59]// 000000005B90: D3F30038 1CE24D3E
	v_mfma_f32_16x16x32_fp8_fp8 v[60:63], a[56:57], a[40:41], v[60:63]// 000000005B98: D3F3003C 1CF25138
	buffer_load_dword v44, s[20:23], 0 offen lds               // 000000005BA0: E0511000 8005002C
	s_add_u32 m0, 0x300, s49                                   // 000000005BA8: 807C31FF 00000300
	v_mfma_f32_16x16x32_fp8_fp8 v[60:63], a[58:59], a[42:43], v[60:63]// 000000005BB0: D3F3003C 1CF2553A
	v_mfma_f32_16x16x32_fp8_fp8 v[60:63], a[60:61], a[44:45], v[60:63]// 000000005BB8: D3F3003C 1CF2593C
	buffer_load_dword v45, s[20:23], 0 offen lds               // 000000005BC0: E0511000 8005002D
	s_add_u32 m0, 0x400, s49                                   // 000000005BC8: 807C31FF 00000400
	v_mfma_f32_16x16x32_fp8_fp8 v[60:63], a[62:63], a[46:47], v[60:63]// 000000005BD0: D3F3003C 1CF25D3E
	buffer_load_dword v46, s[20:23], 0 offen lds               // 000000005BD8: E0511000 8005002E
	s_add_u32 m0, 0x500, s49                                   // 000000005BE0: 807C31FF 00000500
	buffer_load_dword v47, s[20:23], 0 offen lds               // 000000005BE8: E0511000 8005002F
	s_add_u32 m0, 0, s50                                       // 000000005BF0: 807C3280
	s_waitcnt vmcnt(8)                                         // 000000005BF4: BF8C0F78
	s_barrier                                                  // 000000005BF8: BF8A0000
	v_mfma_f32_16x16x32_fp8_fp8 v[64:67], a[64:65], a[24:25], v[64:67]// 000000005BFC: D3F30040 1D023140
	buffer_load_dwordx4 a[56:59], v48, s[84:87], 0 offen       // 000000005C04: E05C1000 80953830
	v_mfma_f32_16x16x32_fp8_fp8 v[64:67], a[66:67], a[26:27], v[64:67]// 000000005C0C: D3F30040 1D023542
	v_mfma_f32_16x16x32_fp8_fp8 v[64:67], a[68:69], a[28:29], v[64:67]// 000000005C14: D3F30040 1D023944
	ds_read_b128 a[0:3], v2                                    // 000000005C1C: DBFE0000 00000002
	ds_read_b128 a[4:7], v2 offset:64                          // 000000005C24: DBFE0040 04000002
	v_mfma_f32_16x16x32_fp8_fp8 v[64:67], a[70:71], a[30:31], v[64:67]// 000000005C2C: D3F30040 1D023D46
	v_mfma_f32_16x16x32_fp8_fp8 v[68:71], a[64:65], a[32:33], v[68:71]// 000000005C34: D3F30044 1D124140
	buffer_load_dwordx4 a[60:63], v48, s[84:87], 0 offen offset:1024// 000000005C3C: E05C1400 80953C30
	s_add_u32 s60, 0x180, s80                                  // 000000005C44: 803C50FF 00000180
	s_cmp_lt_u32 s60, s81                                      // 000000005C4C: BF0A513C
	s_cselect_b32 s57, s57, 0                                  // 000000005C50: 85398039
	v_mfma_f32_16x16x32_fp8_fp8 v[68:71], a[66:67], a[34:35], v[68:71]// 000000005C54: D3F30044 1D124542
	s_add_u32 s60, 0x100, s80                                  // 000000005C5C: 803C50FF 00000100
	s_cmp_lt_u32 s60, s81                                      // 000000005C64: BF0A513C
	s_cselect_b32 s58, s58, 0                                  // 000000005C68: 853A803A
	v_mfma_f32_16x16x32_fp8_fp8 v[68:71], a[68:69], a[36:37], v[68:71]// 000000005C6C: D3F30044 1D124944
	ds_read_b128 a[8:11], v2 offset:512                        // 000000005C74: DBFE0200 08000002
	ds_read_b128 a[12:15], v2 offset:576                       // 000000005C7C: DBFE0240 0C000002
	s_add_u32 s60, 0x100, s80                                  // 000000005C84: 803C50FF 00000100
	s_cmp_lt_u32 s60, s81                                      // 000000005C8C: BF0A513C
	s_cselect_b32 s83, s83, 0                                  // 000000005C90: 85538053
	v_mfma_f32_16x16x32_fp8_fp8 v[68:71], a[70:71], a[38:39], v[68:71]// 000000005C94: D3F30044 1D124D46
	s_add_u32 s24, s58, s24                                    // 000000005C9C: 8018183A
	s_addc_u32 s25, 0, s25                                     // 000000005CA0: 82191980
	v_mfma_f32_16x16x32_fp8_fp8 v[72:75], a[64:65], a[40:41], v[72:75]// 000000005CA4: D3F30048 1D225140
	s_add_u32 s20, s57, s20                                    // 000000005CAC: 80141439
	s_addc_u32 s21, 0, s21                                     // 000000005CB0: 82151580
	v_mfma_f32_16x16x32_fp8_fp8 v[72:75], a[66:67], a[42:43], v[72:75]// 000000005CB4: D3F30048 1D225542
	s_add_u32 s84, s83, s84                                    // 000000005CBC: 80545453
	s_addc_u32 s85, 0, s85                                     // 000000005CC0: 82555580
	v_mfma_f32_16x16x32_fp8_fp8 v[72:75], a[68:69], a[44:45], v[72:75]// 000000005CC4: D3F30048 1D225944
	ds_read_b128 a[16:19], v2 offset:1024                      // 000000005CCC: DBFE0400 10000002
	ds_read_b128 a[20:23], v2 offset:1088                      // 000000005CD4: DBFE0440 14000002
	v_mfma_f32_16x16x32_fp8_fp8 v[72:75], a[70:71], a[46:47], v[72:75]// 000000005CDC: D3F30048 1D225D46
	s_addk_i32 s80, 0x80                                       // 000000005CE4: B7500080
	s_cmp_lt_i32 s80, s81                                      // 000000005CE8: BF045150
	s_cbranch_scc0 label_0CC0                                  // 000000005CEC: BF840001
	s_branch label_0A0D                                        // 000000005CF0: BF82FD4D

0000000000005cf4 <label_0CC0>:
	v_mul_f32_dpp v52, v24, v52 row_newbcast:0 row_mask:0xf bank_mask:0xf// 000000005CF4: 0A6868FA FF015018
	v_mul_f32_dpp v53, v24, v53 row_newbcast:1 row_mask:0xf bank_mask:0xf// 000000005CFC: 0A6A6AFA FF015118
	v_mul_f32_dpp v54, v24, v54 row_newbcast:2 row_mask:0xf bank_mask:0xf// 000000005D04: 0A6C6CFA FF015218
	v_mul_f32_dpp v55, v24, v55 row_newbcast:3 row_mask:0xf bank_mask:0xf// 000000005D0C: 0A6E6EFA FF015318
	v_mul_f32_dpp v56, v24, v56 row_newbcast:0 row_mask:0xf bank_mask:0xf// 000000005D14: 0A7070FA FF015018
	v_mul_f32_dpp v57, v24, v57 row_newbcast:1 row_mask:0xf bank_mask:0xf// 000000005D1C: 0A7272FA FF015118
	v_mul_f32_dpp v58, v24, v58 row_newbcast:2 row_mask:0xf bank_mask:0xf// 000000005D24: 0A7474FA FF015218
	v_mul_f32_dpp v59, v24, v59 row_newbcast:3 row_mask:0xf bank_mask:0xf// 000000005D2C: 0A7676FA FF015318
	v_mul_f32_dpp v60, v24, v60 row_newbcast:0 row_mask:0xf bank_mask:0xf// 000000005D34: 0A7878FA FF015018
	v_mul_f32_dpp v61, v24, v61 row_newbcast:1 row_mask:0xf bank_mask:0xf// 000000005D3C: 0A7A7AFA FF015118
	v_mul_f32_dpp v62, v24, v62 row_newbcast:2 row_mask:0xf bank_mask:0xf// 000000005D44: 0A7C7CFA FF015218
	v_mul_f32_dpp v63, v24, v63 row_newbcast:3 row_mask:0xf bank_mask:0xf// 000000005D4C: 0A7E7EFA FF015318
	v_mul_f32_dpp v64, v27, v64 row_newbcast:0 row_mask:0xf bank_mask:0xf// 000000005D54: 0A8080FA FF01501B
	v_mul_f32_dpp v65, v27, v65 row_newbcast:1 row_mask:0xf bank_mask:0xf// 000000005D5C: 0A8282FA FF01511B
	v_mul_f32_dpp v66, v27, v66 row_newbcast:2 row_mask:0xf bank_mask:0xf// 000000005D64: 0A8484FA FF01521B
	v_mul_f32_dpp v67, v27, v67 row_newbcast:3 row_mask:0xf bank_mask:0xf// 000000005D6C: 0A8686FA FF01531B
	v_mul_f32_dpp v68, v27, v68 row_newbcast:0 row_mask:0xf bank_mask:0xf// 000000005D74: 0A8888FA FF01501B
	v_mul_f32_dpp v69, v27, v69 row_newbcast:1 row_mask:0xf bank_mask:0xf// 000000005D7C: 0A8A8AFA FF01511B
	v_mul_f32_dpp v70, v27, v70 row_newbcast:2 row_mask:0xf bank_mask:0xf// 000000005D84: 0A8C8CFA FF01521B
	v_mul_f32_dpp v71, v27, v71 row_newbcast:3 row_mask:0xf bank_mask:0xf// 000000005D8C: 0A8E8EFA FF01531B
	v_mul_f32_dpp v72, v27, v72 row_newbcast:0 row_mask:0xf bank_mask:0xf// 000000005D94: 0A9090FA FF01501B
	v_mul_f32_dpp v73, v27, v73 row_newbcast:1 row_mask:0xf bank_mask:0xf// 000000005D9C: 0A9292FA FF01511B
	v_mul_f32_dpp v74, v27, v74 row_newbcast:2 row_mask:0xf bank_mask:0xf// 000000005DA4: 0A9494FA FF01521B
	v_mul_f32_dpp v75, v27, v75 row_newbcast:3 row_mask:0xf bank_mask:0xf// 000000005DAC: 0A9696FA FF01531B
	v_mul_f32_e32 v33, v33, v76                                // 000000005DB4: 0A429921
	v_mov_b32_e32 v4, v33                                      // 000000005DB8: 7E080321
	v_mov_b32_e32 v5, v4                                       // 000000005DBC: 7E0A0304
	v_pk_mul_f32 v[52:53], v[4:5], v[52:53]                    // 000000005DC0: D3B14034 18026904
	v_pk_mul_f32 v[64:65], v[4:5], v[64:65]                    // 000000005DC8: D3B14040 18028104
	v_pk_mul_f32 v[54:55], v[4:5], v[54:55]                    // 000000005DD0: D3B14036 18026D04
	v_pk_mul_f32 v[66:67], v[4:5], v[66:67]                    // 000000005DD8: D3B14042 18028504
	v_mul_f32_e32 v34, v34, v77                                // 000000005DE0: 0A449B22
	v_mov_b32_e32 v4, v34                                      // 000000005DE4: 7E080322
	v_mov_b32_e32 v5, v4                                       // 000000005DE8: 7E0A0304
	v_pk_mul_f32 v[56:57], v[4:5], v[56:57]                    // 000000005DEC: D3B14038 18027104
	v_pk_mul_f32 v[68:69], v[4:5], v[68:69]                    // 000000005DF4: D3B14044 18028904
	v_pk_mul_f32 v[58:59], v[4:5], v[58:59]                    // 000000005DFC: D3B1403A 18027504
	v_pk_mul_f32 v[70:71], v[4:5], v[70:71]                    // 000000005E04: D3B14046 18028D04
	v_mul_f32_e32 v35, v35, v78                                // 000000005E0C: 0A469D23
	v_mov_b32_e32 v4, v35                                      // 000000005E10: 7E080323
	v_mov_b32_e32 v5, v4                                       // 000000005E14: 7E0A0304
	v_pk_mul_f32 v[60:61], v[4:5], v[60:61]                    // 000000005E18: D3B1403C 18027904
	v_pk_mul_f32 v[72:73], v[4:5], v[72:73]                    // 000000005E20: D3B14048 18029104
	v_pk_mul_f32 v[62:63], v[4:5], v[62:63]                    // 000000005E28: D3B1403E 18027D04
	v_pk_mul_f32 v[74:75], v[4:5], v[74:75]                    // 000000005E30: D3B1404A 18029504
	s_cmp_eq_u32 s88, 0                                        // 000000005E38: BF068058
	s_cbranch_scc0 label_0F62                                  // 000000005E3C: BF84024F
	s_cmp_eq_u32 s89, 0                                        // 000000005E40: BF068059
	s_cbranch_scc1 label_0D92                                  // 000000005E44: BF85007D
	v_mov_b32_e32 v8, v1                                       // 000000005E48: 7E100301
	v_mov_b32_e32 v9, v1                                       // 000000005E4C: 7E120301
	s_mov_b32 s60, s6                                          // 000000005E50: BEBC0006
	s_mov_b32 s61, s6                                          // 000000005E54: BEBD0006
	v_pk_mul_f32 v[4:5], v[52:53], v[52:53]                    // 000000005E58: D3B14004 18026934
	v_pk_mul_f32 v[6:7], v[54:55], v[54:55]                    // 000000005E60: D3B14006 18026D36
	v_pk_fma_f32 v[4:5], v[4:5], s[78:79], v[8:9]              // 000000005E68: D3B04004 1C209D04
	v_pk_fma_f32 v[6:7], v[6:7], s[78:79], v[8:9]              // 000000005E70: D3B04006 1C209D06
	v_pk_mul_f32 v[4:5], v[4:5], v[52:53]                      // 000000005E78: D3B14004 18026904
	v_pk_mul_f32 v[6:7], v[6:7], v[54:55]                      // 000000005E80: D3B14006 18026D06
	v_pk_mul_f32 v[4:5], v[4:5], s[60:61]                      // 000000005E88: D3B14004 18007904
	v_pk_mul_f32 v[6:7], v[6:7], s[60:61]                      // 000000005E90: D3B14006 18007906
	v_exp_f32_e32 v4, v4                                       // 000000005E98: 7E084104
	v_exp_f32_e32 v5, v5                                       // 000000005E9C: 7E0A4105
	v_exp_f32_e32 v6, v6                                       // 000000005EA0: 7E0C4106
	v_exp_f32_e32 v7, v7                                       // 000000005EA4: 7E0E4107
	v_add_f32_e64 v4, v4, 1.0                                  // 000000005EA8: D1010004 0001E504
	v_add_f32_e64 v5, v5, 1.0                                  // 000000005EB0: D1010005 0001E505
	v_add_f32_e64 v6, v6, 1.0                                  // 000000005EB8: D1010006 0001E506
	v_add_f32_e64 v7, v7, 1.0                                  // 000000005EC0: D1010007 0001E507
	v_rcp_f32_e32 v4, v4                                       // 000000005EC8: 7E084504
	v_rcp_f32_e32 v5, v5                                       // 000000005ECC: 7E0A4505
	v_rcp_f32_e32 v6, v6                                       // 000000005ED0: 7E0C4506
	v_rcp_f32_e32 v7, v7                                       // 000000005ED4: 7E0E4507
	v_mul_f32_e32 v52, v52, v4                                 // 000000005ED8: 0A680934
	v_mul_f32_e32 v53, v53, v5                                 // 000000005EDC: 0A6A0B35
	v_mul_f32_e32 v54, v54, v6                                 // 000000005EE0: 0A6C0D36
	v_mul_f32_e32 v55, v55, v7                                 // 000000005EE4: 0A6E0F37
	v_mul_f32_e32 v52, v52, v64                                // 000000005EE8: 0A688134
	v_mul_f32_e32 v53, v53, v65                                // 000000005EEC: 0A6A8335
	v_mul_f32_e32 v54, v54, v66                                // 000000005EF0: 0A6C8536
	v_mul_f32_e32 v55, v55, v67                                // 000000005EF4: 0A6E8737
	v_pk_mul_f32 v[4:5], v[56:57], v[56:57]                    // 000000005EF8: D3B14004 18027138
	v_pk_mul_f32 v[6:7], v[58:59], v[58:59]                    // 000000005F00: D3B14006 1802753A
	v_pk_fma_f32 v[4:5], v[4:5], s[78:79], v[8:9]              // 000000005F08: D3B04004 1C209D04
	v_pk_fma_f32 v[6:7], v[6:7], s[78:79], v[8:9]              // 000000005F10: D3B04006 1C209D06
	v_pk_mul_f32 v[4:5], v[4:5], v[56:57]                      // 000000005F18: D3B14004 18027104
	v_pk_mul_f32 v[6:7], v[6:7], v[58:59]                      // 000000005F20: D3B14006 18027506
	v_pk_mul_f32 v[4:5], v[4:5], s[60:61]                      // 000000005F28: D3B14004 18007904
	v_pk_mul_f32 v[6:7], v[6:7], s[60:61]                      // 000000005F30: D3B14006 18007906
	v_exp_f32_e32 v4, v4                                       // 000000005F38: 7E084104
	v_exp_f32_e32 v5, v5                                       // 000000005F3C: 7E0A4105
	v_exp_f32_e32 v6, v6                                       // 000000005F40: 7E0C4106
	v_exp_f32_e32 v7, v7                                       // 000000005F44: 7E0E4107
	v_add_f32_e64 v4, v4, 1.0                                  // 000000005F48: D1010004 0001E504
	v_add_f32_e64 v5, v5, 1.0                                  // 000000005F50: D1010005 0001E505
	v_add_f32_e64 v6, v6, 1.0                                  // 000000005F58: D1010006 0001E506
	v_add_f32_e64 v7, v7, 1.0                                  // 000000005F60: D1010007 0001E507
	v_rcp_f32_e32 v4, v4                                       // 000000005F68: 7E084504
	v_rcp_f32_e32 v5, v5                                       // 000000005F6C: 7E0A4505
	v_rcp_f32_e32 v6, v6                                       // 000000005F70: 7E0C4506
	v_rcp_f32_e32 v7, v7                                       // 000000005F74: 7E0E4507
	v_mul_f32_e32 v56, v56, v4                                 // 000000005F78: 0A700938
	v_mul_f32_e32 v57, v57, v5                                 // 000000005F7C: 0A720B39
	v_mul_f32_e32 v58, v58, v6                                 // 000000005F80: 0A740D3A
	v_mul_f32_e32 v59, v59, v7                                 // 000000005F84: 0A760F3B
	v_mul_f32_e32 v56, v56, v68                                // 000000005F88: 0A708938
	v_mul_f32_e32 v57, v57, v69                                // 000000005F8C: 0A728B39
	v_mul_f32_e32 v58, v58, v70                                // 000000005F90: 0A748D3A
	v_mul_f32_e32 v59, v59, v71                                // 000000005F94: 0A768F3B
	v_pk_mul_f32 v[4:5], v[60:61], v[60:61]                    // 000000005F98: D3B14004 1802793C
	v_pk_mul_f32 v[6:7], v[62:63], v[62:63]                    // 000000005FA0: D3B14006 18027D3E
	v_pk_fma_f32 v[4:5], v[4:5], s[78:79], v[8:9]              // 000000005FA8: D3B04004 1C209D04
	v_pk_fma_f32 v[6:7], v[6:7], s[78:79], v[8:9]              // 000000005FB0: D3B04006 1C209D06
	v_pk_mul_f32 v[4:5], v[4:5], v[60:61]                      // 000000005FB8: D3B14004 18027904
	v_pk_mul_f32 v[6:7], v[6:7], v[62:63]                      // 000000005FC0: D3B14006 18027D06
	v_pk_mul_f32 v[4:5], v[4:5], s[60:61]                      // 000000005FC8: D3B14004 18007904
	v_pk_mul_f32 v[6:7], v[6:7], s[60:61]                      // 000000005FD0: D3B14006 18007906
	v_exp_f32_e32 v4, v4                                       // 000000005FD8: 7E084104
	v_exp_f32_e32 v5, v5                                       // 000000005FDC: 7E0A4105
	v_exp_f32_e32 v6, v6                                       // 000000005FE0: 7E0C4106
	v_exp_f32_e32 v7, v7                                       // 000000005FE4: 7E0E4107
	v_add_f32_e64 v4, v4, 1.0                                  // 000000005FE8: D1010004 0001E504
	v_add_f32_e64 v5, v5, 1.0                                  // 000000005FF0: D1010005 0001E505
	v_add_f32_e64 v6, v6, 1.0                                  // 000000005FF8: D1010006 0001E506
	v_add_f32_e64 v7, v7, 1.0                                  // 000000006000: D1010007 0001E507
	v_rcp_f32_e32 v4, v4                                       // 000000006008: 7E084504
	v_rcp_f32_e32 v5, v5                                       // 00000000600C: 7E0A4505
	v_rcp_f32_e32 v6, v6                                       // 000000006010: 7E0C4506
	v_rcp_f32_e32 v7, v7                                       // 000000006014: 7E0E4507
	v_mul_f32_e32 v60, v60, v4                                 // 000000006018: 0A78093C
	v_mul_f32_e32 v61, v61, v5                                 // 00000000601C: 0A7A0B3D
	v_mul_f32_e32 v62, v62, v6                                 // 000000006020: 0A7C0D3E
	v_mul_f32_e32 v63, v63, v7                                 // 000000006024: 0A7E0F3F
	v_mul_f32_e32 v60, v60, v72                                // 000000006028: 0A78913C
	v_mul_f32_e32 v61, v61, v73                                // 00000000602C: 0A7A933D
	v_mul_f32_e32 v62, v62, v74                                // 000000006030: 0A7C953E
	v_mul_f32_e32 v63, v63, v75                                // 000000006034: 0A7E973F
	s_branch label_0DF2                                        // 000000006038: BF820060

000000000000603c <label_0D92>:
	v_mul_f32_e64 v4, -v52, s6                                 // 00000000603C: D1050004 20000D34
	v_mul_f32_e64 v5, -v53, s6                                 // 000000006044: D1050005 20000D35
	v_mul_f32_e64 v6, -v54, s6                                 // 00000000604C: D1050006 20000D36
	v_mul_f32_e64 v7, -v55, s6                                 // 000000006054: D1050007 20000D37
	v_exp_f32_e32 v4, v4                                       // 00000000605C: 7E084104
	v_exp_f32_e32 v5, v5                                       // 000000006060: 7E0A4105
	v_exp_f32_e32 v6, v6                                       // 000000006064: 7E0C4106
	v_exp_f32_e32 v7, v7                                       // 000000006068: 7E0E4107
	v_add_f32_e64 v4, v4, 1.0                                  // 00000000606C: D1010004 0001E504
	v_add_f32_e64 v5, v5, 1.0                                  // 000000006074: D1010005 0001E505
	v_add_f32_e64 v6, v6, 1.0                                  // 00000000607C: D1010006 0001E506
	v_add_f32_e64 v7, v7, 1.0                                  // 000000006084: D1010007 0001E507
	v_rcp_f32_e32 v4, v4                                       // 00000000608C: 7E084504
	v_rcp_f32_e32 v5, v5                                       // 000000006090: 7E0A4505
	v_rcp_f32_e32 v6, v6                                       // 000000006094: 7E0C4506
	v_rcp_f32_e32 v7, v7                                       // 000000006098: 7E0E4507
	v_mul_f32_e32 v52, v52, v4                                 // 00000000609C: 0A680934
	v_mul_f32_e32 v53, v53, v5                                 // 0000000060A0: 0A6A0B35
	v_mul_f32_e32 v54, v54, v6                                 // 0000000060A4: 0A6C0D36
	v_mul_f32_e32 v55, v55, v7                                 // 0000000060A8: 0A6E0F37
	v_mul_f32_e32 v52, v52, v64                                // 0000000060AC: 0A688134
	v_mul_f32_e32 v53, v53, v65                                // 0000000060B0: 0A6A8335
	v_mul_f32_e32 v54, v54, v66                                // 0000000060B4: 0A6C8536
	v_mul_f32_e32 v55, v55, v67                                // 0000000060B8: 0A6E8737
	v_mul_f32_e64 v4, -v56, s6                                 // 0000000060BC: D1050004 20000D38
	v_mul_f32_e64 v5, -v57, s6                                 // 0000000060C4: D1050005 20000D39
	v_mul_f32_e64 v6, -v58, s6                                 // 0000000060CC: D1050006 20000D3A
	v_mul_f32_e64 v7, -v59, s6                                 // 0000000060D4: D1050007 20000D3B
	v_exp_f32_e32 v4, v4                                       // 0000000060DC: 7E084104
	v_exp_f32_e32 v5, v5                                       // 0000000060E0: 7E0A4105
	v_exp_f32_e32 v6, v6                                       // 0000000060E4: 7E0C4106
	v_exp_f32_e32 v7, v7                                       // 0000000060E8: 7E0E4107
	v_add_f32_e64 v4, v4, 1.0                                  // 0000000060EC: D1010004 0001E504
	v_add_f32_e64 v5, v5, 1.0                                  // 0000000060F4: D1010005 0001E505
	v_add_f32_e64 v6, v6, 1.0                                  // 0000000060FC: D1010006 0001E506
	v_add_f32_e64 v7, v7, 1.0                                  // 000000006104: D1010007 0001E507
	v_rcp_f32_e32 v4, v4                                       // 00000000610C: 7E084504
	v_rcp_f32_e32 v5, v5                                       // 000000006110: 7E0A4505
	v_rcp_f32_e32 v6, v6                                       // 000000006114: 7E0C4506
	v_rcp_f32_e32 v7, v7                                       // 000000006118: 7E0E4507
	v_mul_f32_e32 v56, v56, v4                                 // 00000000611C: 0A700938
	v_mul_f32_e32 v57, v57, v5                                 // 000000006120: 0A720B39
	v_mul_f32_e32 v58, v58, v6                                 // 000000006124: 0A740D3A
	v_mul_f32_e32 v59, v59, v7                                 // 000000006128: 0A760F3B
	v_mul_f32_e32 v56, v56, v68                                // 00000000612C: 0A708938
	v_mul_f32_e32 v57, v57, v69                                // 000000006130: 0A728B39
	v_mul_f32_e32 v58, v58, v70                                // 000000006134: 0A748D3A
	v_mul_f32_e32 v59, v59, v71                                // 000000006138: 0A768F3B
	v_mul_f32_e64 v4, -v60, s6                                 // 00000000613C: D1050004 20000D3C
	v_mul_f32_e64 v5, -v61, s6                                 // 000000006144: D1050005 20000D3D
	v_mul_f32_e64 v6, -v62, s6                                 // 00000000614C: D1050006 20000D3E
	v_mul_f32_e64 v7, -v63, s6                                 // 000000006154: D1050007 20000D3F
	v_exp_f32_e32 v4, v4                                       // 00000000615C: 7E084104
	v_exp_f32_e32 v5, v5                                       // 000000006160: 7E0A4105
	v_exp_f32_e32 v6, v6                                       // 000000006164: 7E0C4106
	v_exp_f32_e32 v7, v7                                       // 000000006168: 7E0E4107
	v_add_f32_e64 v4, v4, 1.0                                  // 00000000616C: D1010004 0001E504
	v_add_f32_e64 v5, v5, 1.0                                  // 000000006174: D1010005 0001E505
	v_add_f32_e64 v6, v6, 1.0                                  // 00000000617C: D1010006 0001E506
	v_add_f32_e64 v7, v7, 1.0                                  // 000000006184: D1010007 0001E507
	v_rcp_f32_e32 v4, v4                                       // 00000000618C: 7E084504
	v_rcp_f32_e32 v5, v5                                       // 000000006190: 7E0A4505
	v_rcp_f32_e32 v6, v6                                       // 000000006194: 7E0C4506
	v_rcp_f32_e32 v7, v7                                       // 000000006198: 7E0E4507
	v_mul_f32_e32 v60, v60, v4                                 // 00000000619C: 0A78093C
	v_mul_f32_e32 v61, v61, v5                                 // 0000000061A0: 0A7A0B3D
	v_mul_f32_e32 v62, v62, v6                                 // 0000000061A4: 0A7C0D3E
	v_mul_f32_e32 v63, v63, v7                                 // 0000000061A8: 0A7E0F3F
	v_mul_f32_e32 v60, v60, v72                                // 0000000061AC: 0A78913C
	v_mul_f32_e32 v61, v61, v73                                // 0000000061B0: 0A7A933D
	v_mul_f32_e32 v62, v62, v74                                // 0000000061B4: 0A7C953E
	v_mul_f32_e32 v63, v63, v75                                // 0000000061B8: 0A7E973F

00000000000061bc <label_0DF2>:
	v_cmp_u_f32_e64 s[46:47], v52, v52                         // 0000000061BC: D048002E 00026934
	v_add3_u32 v16, v52, v19, 1                                // 0000000061C4: D1FF0010 02062734
	v_cndmask_b32_e64 v4, v16, v18, s[46:47]                   // 0000000061CC: D1000004 00BA2510
	v_cmp_u_f32_e64 s[46:47], v53, v53                         // 0000000061D4: D048002E 00026B35
	v_add3_u32 v16, v53, v19, 1                                // 0000000061DC: D1FF0010 02062735
	v_cndmask_b32_e64 v5, v16, v18, s[46:47]                   // 0000000061E4: D1000005 00BA2510
	v_perm_b32 v52, v5, v4, s52                                // 0000000061EC: D1ED0034 00D20905
	v_cmp_u_f32_e64 s[46:47], v54, v54                         // 0000000061F4: D048002E 00026D36
	v_add3_u32 v16, v54, v19, 1                                // 0000000061FC: D1FF0010 02062736
	v_cndmask_b32_e64 v4, v16, v18, s[46:47]                   // 000000006204: D1000004 00BA2510
	v_cmp_u_f32_e64 s[46:47], v55, v55                         // 00000000620C: D048002E 00026F37
	v_add3_u32 v16, v55, v19, 1                                // 000000006214: D1FF0010 02062737
	v_cndmask_b32_e64 v5, v16, v18, s[46:47]                   // 00000000621C: D1000005 00BA2510
	v_perm_b32 v53, v5, v4, s52                                // 000000006224: D1ED0035 00D20905
	v_cmp_u_f32_e64 s[46:47], v56, v56                         // 00000000622C: D048002E 00027138
	v_add3_u32 v16, v56, v19, 1                                // 000000006234: D1FF0010 02062738
	v_cndmask_b32_e64 v4, v16, v18, s[46:47]                   // 00000000623C: D1000004 00BA2510
	v_cmp_u_f32_e64 s[46:47], v57, v57                         // 000000006244: D048002E 00027339
	v_add3_u32 v16, v57, v19, 1                                // 00000000624C: D1FF0010 02062739
	v_cndmask_b32_e64 v5, v16, v18, s[46:47]                   // 000000006254: D1000005 00BA2510
	v_perm_b32 v54, v5, v4, s52                                // 00000000625C: D1ED0036 00D20905
	v_cmp_u_f32_e64 s[46:47], v58, v58                         // 000000006264: D048002E 0002753A
	v_add3_u32 v16, v58, v19, 1                                // 00000000626C: D1FF0010 0206273A
	v_cndmask_b32_e64 v4, v16, v18, s[46:47]                   // 000000006274: D1000004 00BA2510
	v_cmp_u_f32_e64 s[46:47], v59, v59                         // 00000000627C: D048002E 0002773B
	v_add3_u32 v16, v59, v19, 1                                // 000000006284: D1FF0010 0206273B
	v_cndmask_b32_e64 v5, v16, v18, s[46:47]                   // 00000000628C: D1000005 00BA2510
	v_perm_b32 v55, v5, v4, s52                                // 000000006294: D1ED0037 00D20905
	v_cmp_u_f32_e64 s[46:47], v60, v60                         // 00000000629C: D048002E 0002793C
	v_add3_u32 v16, v60, v19, 1                                // 0000000062A4: D1FF0010 0206273C
	v_cndmask_b32_e64 v4, v16, v18, s[46:47]                   // 0000000062AC: D1000004 00BA2510
	v_cmp_u_f32_e64 s[46:47], v61, v61                         // 0000000062B4: D048002E 00027B3D
	v_add3_u32 v16, v61, v19, 1                                // 0000000062BC: D1FF0010 0206273D
	v_cndmask_b32_e64 v5, v16, v18, s[46:47]                   // 0000000062C4: D1000005 00BA2510
	v_perm_b32 v56, v5, v4, s52                                // 0000000062CC: D1ED0038 00D20905
	v_cmp_u_f32_e64 s[46:47], v62, v62                         // 0000000062D4: D048002E 00027D3E
	v_add3_u32 v16, v62, v19, 1                                // 0000000062DC: D1FF0010 0206273E
	v_cndmask_b32_e64 v4, v16, v18, s[46:47]                   // 0000000062E4: D1000004 00BA2510
	v_cmp_u_f32_e64 s[46:47], v63, v63                         // 0000000062EC: D048002E 00027F3F
	v_add3_u32 v16, v63, v19, 1                                // 0000000062F4: D1FF0010 0206273F
	v_cndmask_b32_e64 v5, v16, v18, s[46:47]                   // 0000000062FC: D1000005 00BA2510
	v_perm_b32 v57, v5, v4, s52                                // 000000006304: D1ED0039 00D20905
	ds_write_b64 v20, v[52:53]                                 // 00000000630C: D89A0000 00003414
	ds_write_b64 v20, v[54:55] offset:2176                     // 000000006314: D89A0880 00003614
	ds_write_b64 v20, v[56:57] offset:4352                     // 00000000631C: D89A1100 00003814
	v_lshrrev_b32_e32 v4, 5, v0                                // 000000006324: 20080085
	v_xor_b32_e32 v5, 1, v4                                    // 000000006328: 2A0A0881
	s_mul_i32 s60, s65, 2                                      // 00000000632C: 923C8241
	s_cmp_eq_u32 s88, 0                                        // 000000006330: BF068058
	s_cselect_b32 s61, 1, 4                                    // 000000006334: 853D8481
	s_mul_i32 s60, s61, s60                                    // 000000006338: 923C3C3D
	v_readlane_b32 s82, v3, 0                                  // 00000000633C: D2890052 00010103
	s_lshr_b32 s61, s82, 24                                    // 000000006344: 8F3D9852
	s_and_b32 s82, s82, 0xffffff                               // 000000006348: 8652FF52 00FFFFFF
	s_mul_i32 s82, s82, s71                                    // 000000006350: 92524752
	s_mul_i32 s61, s60, s61                                    // 000000006354: 923D3D3C
	s_add_u32 s82, s82, s61                                    // 000000006358: 80523D52
	v_mul_lo_u32 v6, v5, s82                                   // 00000000635C: D2850006 0000A505
	v_readlane_b32 s82, v3, 1                                  // 000000006364: D2890052 00010303
	s_lshr_b32 s61, s82, 24                                    // 00000000636C: 8F3D9852
	s_and_b32 s82, s82, 0xffffff                               // 000000006370: 8652FF52 00FFFFFF
	s_mul_i32 s82, s82, s71                                    // 000000006378: 92524752
	s_mul_i32 s61, s60, s61                                    // 00000000637C: 923D3D3C
	s_add_u32 s82, s82, s61                                    // 000000006380: 80523D52
	v_mul_lo_u32 v7, v4, s82                                   // 000000006384: D2850007 0000A504
	v_add_u32_e32 v42, v6, v7                                  // 00000000638C: 68540F06
	v_readlane_b32 s82, v3, 2                                  // 000000006390: D2890052 00010503
	s_lshr_b32 s61, s82, 24                                    // 000000006398: 8F3D9852
	s_and_b32 s82, s82, 0xffffff                               // 00000000639C: 8652FF52 00FFFFFF
	s_mul_i32 s82, s82, s71                                    // 0000000063A4: 92524752
	s_mul_i32 s61, s60, s61                                    // 0000000063A8: 923D3D3C
	s_add_u32 s82, s82, s61                                    // 0000000063AC: 80523D52
	v_mul_lo_u32 v6, v5, s82                                   // 0000000063B0: D2850006 0000A505
	v_readlane_b32 s82, v3, 3                                  // 0000000063B8: D2890052 00010703
	s_lshr_b32 s61, s82, 24                                    // 0000000063C0: 8F3D9852
	s_and_b32 s82, s82, 0xffffff                               // 0000000063C4: 8652FF52 00FFFFFF
	s_mul_i32 s82, s82, s71                                    // 0000000063CC: 92524752
	s_mul_i32 s61, s60, s61                                    // 0000000063D0: 923D3D3C
	s_add_u32 s82, s82, s61                                    // 0000000063D4: 80523D52
	v_mul_lo_u32 v7, v4, s82                                   // 0000000063D8: D2850007 0000A504
	v_add_u32_e32 v43, v6, v7                                  // 0000000063E0: 68560F06
	v_readlane_b32 s82, v3, 4                                  // 0000000063E4: D2890052 00010903
	s_lshr_b32 s61, s82, 24                                    // 0000000063EC: 8F3D9852
	s_and_b32 s82, s82, 0xffffff                               // 0000000063F0: 8652FF52 00FFFFFF
	s_mul_i32 s82, s82, s71                                    // 0000000063F8: 92524752
	s_mul_i32 s61, s60, s61                                    // 0000000063FC: 923D3D3C
	s_add_u32 s82, s82, s61                                    // 000000006400: 80523D52
	v_mul_lo_u32 v6, v5, s82                                   // 000000006404: D2850006 0000A505
	v_readlane_b32 s82, v3, 5                                  // 00000000640C: D2890052 00010B03
	s_lshr_b32 s61, s82, 24                                    // 000000006414: 8F3D9852
	s_and_b32 s82, s82, 0xffffff                               // 000000006418: 8652FF52 00FFFFFF
	s_mul_i32 s82, s82, s71                                    // 000000006420: 92524752
	s_mul_i32 s61, s60, s61                                    // 000000006424: 923D3D3C
	s_add_u32 s82, s82, s61                                    // 000000006428: 80523D52
	v_mul_lo_u32 v7, v4, s82                                   // 00000000642C: D2850007 0000A504
	v_add_u32_e32 v44, v6, v7                                  // 000000006434: 68580F06
	v_readlane_b32 s82, v3, 6                                  // 000000006438: D2890052 00010D03
	s_lshr_b32 s61, s82, 24                                    // 000000006440: 8F3D9852
	s_and_b32 s82, s82, 0xffffff                               // 000000006444: 8652FF52 00FFFFFF
	s_mul_i32 s82, s82, s71                                    // 00000000644C: 92524752
	s_mul_i32 s61, s60, s61                                    // 000000006450: 923D3D3C
	s_add_u32 s82, s82, s61                                    // 000000006454: 80523D52
	v_mul_lo_u32 v6, v5, s82                                   // 000000006458: D2850006 0000A505
	v_readlane_b32 s82, v3, 7                                  // 000000006460: D2890052 00010F03
	s_lshr_b32 s61, s82, 24                                    // 000000006468: 8F3D9852
	s_and_b32 s82, s82, 0xffffff                               // 00000000646C: 8652FF52 00FFFFFF
	s_mul_i32 s82, s82, s71                                    // 000000006474: 92524752
	s_mul_i32 s61, s60, s61                                    // 000000006478: 923D3D3C
	s_add_u32 s82, s82, s61                                    // 00000000647C: 80523D52
	v_mul_lo_u32 v7, v4, s82                                   // 000000006480: D2850007 0000A504
	v_add_u32_e32 v45, v6, v7                                  // 000000006488: 685A0F06
	v_readlane_b32 s82, v3, 8                                  // 00000000648C: D2890052 00011103
	s_lshr_b32 s61, s82, 24                                    // 000000006494: 8F3D9852
	s_and_b32 s82, s82, 0xffffff                               // 000000006498: 8652FF52 00FFFFFF
	s_mul_i32 s82, s82, s71                                    // 0000000064A0: 92524752
	s_mul_i32 s61, s60, s61                                    // 0000000064A4: 923D3D3C
	s_add_u32 s82, s82, s61                                    // 0000000064A8: 80523D52
	v_mul_lo_u32 v6, v5, s82                                   // 0000000064AC: D2850006 0000A505
	v_readlane_b32 s82, v3, 9                                  // 0000000064B4: D2890052 00011303
	s_lshr_b32 s61, s82, 24                                    // 0000000064BC: 8F3D9852
	s_and_b32 s82, s82, 0xffffff                               // 0000000064C0: 8652FF52 00FFFFFF
	s_mul_i32 s82, s82, s71                                    // 0000000064C8: 92524752
	s_mul_i32 s61, s60, s61                                    // 0000000064CC: 923D3D3C
	s_add_u32 s82, s82, s61                                    // 0000000064D0: 80523D52
	v_mul_lo_u32 v7, v4, s82                                   // 0000000064D4: D2850007 0000A504
	v_add_u32_e32 v46, v6, v7                                  // 0000000064DC: 685C0F06
	v_readlane_b32 s82, v3, 10                                 // 0000000064E0: D2890052 00011503
	s_lshr_b32 s61, s82, 24                                    // 0000000064E8: 8F3D9852
	s_and_b32 s82, s82, 0xffffff                               // 0000000064EC: 8652FF52 00FFFFFF
	s_mul_i32 s82, s82, s71                                    // 0000000064F4: 92524752
	s_mul_i32 s61, s60, s61                                    // 0000000064F8: 923D3D3C
	s_add_u32 s82, s82, s61                                    // 0000000064FC: 80523D52
	v_mul_lo_u32 v6, v5, s82                                   // 000000006500: D2850006 0000A505
	v_readlane_b32 s82, v3, 11                                 // 000000006508: D2890052 00011703
	s_lshr_b32 s61, s82, 24                                    // 000000006510: 8F3D9852
	s_and_b32 s82, s82, 0xffffff                               // 000000006514: 8652FF52 00FFFFFF
	s_mul_i32 s82, s82, s71                                    // 00000000651C: 92524752
	s_mul_i32 s61, s60, s61                                    // 000000006520: 923D3D3C
	s_add_u32 s82, s82, s61                                    // 000000006524: 80523D52
	v_mul_lo_u32 v7, v4, s82                                   // 000000006528: D2850007 0000A504
	v_add_u32_e32 v47, v6, v7                                  // 000000006530: 685E0F06
	v_and_b32_e32 v4, 31, v0                                   // 000000006534: 2608009F
	v_lshrrev_b32_e32 v4, 1, v4                                // 000000006538: 20080881
	s_cmp_eq_u32 s88, 0                                        // 00000000653C: BF068058
	s_cselect_b32 s61, 2, 4                                    // 000000006540: 853D8482
	v_mul_lo_u32 v4, v4, s61                                   // 000000006544: D2850004 00007B04
	v_and_b32_e64 v5, v0, 1                                    // 00000000654C: D1130005 00010300
	v_add_u32_e32 v4, v4, v5                                   // 000000006554: 68080B04
	v_lshlrev_b32_e32 v4, 2, v4                                // 000000006558: 24080882
	v_add_u32_e32 v42, v42, v4                                 // 00000000655C: 6854092A
	v_add_u32_e32 v43, v43, v4                                 // 000000006560: 6856092B
	v_add_u32_e32 v44, v44, v4                                 // 000000006564: 6858092C
	v_add_u32_e32 v45, v45, v4                                 // 000000006568: 685A092D
	v_add_u32_e32 v46, v46, v4                                 // 00000000656C: 685C092E
	v_add_u32_e32 v47, v47, v4                                 // 000000006570: 685E092F
	s_waitcnt lgkmcnt(0)                                       // 000000006574: BF8CC07F
	s_barrier                                                  // 000000006578: BF8A0000
	ds_read_b32 v52, v21                                       // 00000000657C: D86C0000 34000015
	ds_read_b32 v53, v21 offset:64                             // 000000006584: D86C0040 35000015
	ds_read_b32 v54, v21 offset:2176                           // 00000000658C: D86C0880 36000015
	ds_read_b32 v55, v21 offset:2240                           // 000000006594: D86C08C0 37000015
	ds_read_b32 v56, v21 offset:4352                           // 00000000659C: D86C1100 38000015
	ds_read_b32 v57, v21 offset:4416                           // 0000000065A4: D86C1140 39000015
	s_waitcnt lgkmcnt(0)                                       // 0000000065AC: BF8CC07F
	s_mov_b32 s36, -1                                          // 0000000065B0: BEA400C1
	s_mov_b32 s37, -1                                          // 0000000065B4: BEA500C1
	v_mov_b32_e32 v7, 0                                        // 0000000065B8: 7E0E0280
	s_or_b32 s9, s9, 0x40000                                   // 0000000065BC: 8709FF09 00040000
	s_mov_b64 exec, s[36:37]                                   // 0000000065C4: BEFE0124
	v_mov_b32_e32 v6, v42                                      // 0000000065C8: 7E0C032A
	s_mov_b64 s[60:61], 0                                      // 0000000065CC: BEBC0180
	v_readlane_b32 s82, v3, 0                                  // 0000000065D0: D2890052 00010103
	s_and_b32 s82, s82, 0xffffff                               // 0000000065D8: 8652FF52 00FFFFFF
	s_cmp_lt_u32 s82, s66                                      // 0000000065E0: BF0A4252
	s_cselect_b32 s20, s36, s60                                // 0000000065E4: 85143C24
	v_readlane_b32 s82, v3, 1                                  // 0000000065E8: D2890052 00010303
	s_and_b32 s82, s82, 0xffffff                               // 0000000065F0: 8652FF52 00FFFFFF
	s_cmp_lt_u32 s82, s66                                      // 0000000065F8: BF0A4252
	s_cselect_b32 s21, s36, s60                                // 0000000065FC: 85153C24
	s_mov_b64 exec, s[20:21]                                   // 000000006600: BEFE0114
	buffer_store_dword v52, v6, s[8:11], 0 offen               // 000000006604: E0701000 80023406
	s_mov_b64 exec, s[36:37]                                   // 00000000660C: BEFE0124
	v_mov_b32_e32 v6, v43                                      // 000000006610: 7E0C032B
	s_mov_b64 s[60:61], 0                                      // 000000006614: BEBC0180
	v_readlane_b32 s82, v3, 2                                  // 000000006618: D2890052 00010503
	s_and_b32 s82, s82, 0xffffff                               // 000000006620: 8652FF52 00FFFFFF
	s_cmp_lt_u32 s82, s66                                      // 000000006628: BF0A4252
	s_cselect_b32 s20, s36, s60                                // 00000000662C: 85143C24
	v_readlane_b32 s82, v3, 3                                  // 000000006630: D2890052 00010703
	s_and_b32 s82, s82, 0xffffff                               // 000000006638: 8652FF52 00FFFFFF
	s_cmp_lt_u32 s82, s66                                      // 000000006640: BF0A4252
	s_cselect_b32 s21, s36, s60                                // 000000006644: 85153C24
	s_mov_b64 exec, s[20:21]                                   // 000000006648: BEFE0114
	buffer_store_dword v53, v6, s[8:11], 0 offen               // 00000000664C: E0701000 80023506
	s_mov_b64 exec, s[36:37]                                   // 000000006654: BEFE0124
	v_mov_b32_e32 v6, v44                                      // 000000006658: 7E0C032C
	s_mov_b64 s[60:61], 0                                      // 00000000665C: BEBC0180
	v_readlane_b32 s82, v3, 4                                  // 000000006660: D2890052 00010903
	s_and_b32 s82, s82, 0xffffff                               // 000000006668: 8652FF52 00FFFFFF
	s_cmp_lt_u32 s82, s66                                      // 000000006670: BF0A4252
	s_cselect_b32 s20, s36, s60                                // 000000006674: 85143C24
	v_readlane_b32 s82, v3, 5                                  // 000000006678: D2890052 00010B03
	s_and_b32 s82, s82, 0xffffff                               // 000000006680: 8652FF52 00FFFFFF
	s_cmp_lt_u32 s82, s66                                      // 000000006688: BF0A4252
	s_cselect_b32 s21, s36, s60                                // 00000000668C: 85153C24
	s_mov_b64 exec, s[20:21]                                   // 000000006690: BEFE0114
	buffer_store_dword v54, v6, s[8:11], 0 offen               // 000000006694: E0701000 80023606
	s_mov_b64 exec, s[36:37]                                   // 00000000669C: BEFE0124
	v_mov_b32_e32 v6, v45                                      // 0000000066A0: 7E0C032D
	s_mov_b64 s[60:61], 0                                      // 0000000066A4: BEBC0180
	v_readlane_b32 s82, v3, 6                                  // 0000000066A8: D2890052 00010D03
	s_and_b32 s82, s82, 0xffffff                               // 0000000066B0: 8652FF52 00FFFFFF
	s_cmp_lt_u32 s82, s66                                      // 0000000066B8: BF0A4252
	s_cselect_b32 s20, s36, s60                                // 0000000066BC: 85143C24
	v_readlane_b32 s82, v3, 7                                  // 0000000066C0: D2890052 00010F03
	s_and_b32 s82, s82, 0xffffff                               // 0000000066C8: 8652FF52 00FFFFFF
	s_cmp_lt_u32 s82, s66                                      // 0000000066D0: BF0A4252
	s_cselect_b32 s21, s36, s60                                // 0000000066D4: 85153C24
	s_mov_b64 exec, s[20:21]                                   // 0000000066D8: BEFE0114
	buffer_store_dword v55, v6, s[8:11], 0 offen               // 0000000066DC: E0701000 80023706
	s_mov_b64 exec, s[36:37]                                   // 0000000066E4: BEFE0124
	v_mov_b32_e32 v6, v46                                      // 0000000066E8: 7E0C032E
	s_mov_b64 s[60:61], 0                                      // 0000000066EC: BEBC0180
	v_readlane_b32 s82, v3, 8                                  // 0000000066F0: D2890052 00011103
	s_and_b32 s82, s82, 0xffffff                               // 0000000066F8: 8652FF52 00FFFFFF
	s_cmp_lt_u32 s82, s66                                      // 000000006700: BF0A4252
	s_cselect_b32 s20, s36, s60                                // 000000006704: 85143C24
	v_readlane_b32 s82, v3, 9                                  // 000000006708: D2890052 00011303
	s_and_b32 s82, s82, 0xffffff                               // 000000006710: 8652FF52 00FFFFFF
	s_cmp_lt_u32 s82, s66                                      // 000000006718: BF0A4252
	s_cselect_b32 s21, s36, s60                                // 00000000671C: 85153C24
	s_mov_b64 exec, s[20:21]                                   // 000000006720: BEFE0114
	buffer_store_dword v56, v6, s[8:11], 0 offen               // 000000006724: E0701000 80023806
	s_mov_b64 exec, s[36:37]                                   // 00000000672C: BEFE0124
	v_mov_b32_e32 v6, v47                                      // 000000006730: 7E0C032F
	s_mov_b64 s[60:61], 0                                      // 000000006734: BEBC0180
	v_readlane_b32 s82, v3, 10                                 // 000000006738: D2890052 00011503
	s_and_b32 s82, s82, 0xffffff                               // 000000006740: 8652FF52 00FFFFFF
	s_cmp_lt_u32 s82, s66                                      // 000000006748: BF0A4252
	s_cselect_b32 s20, s36, s60                                // 00000000674C: 85143C24
	v_readlane_b32 s82, v3, 11                                 // 000000006750: D2890052 00011703
	s_and_b32 s82, s82, 0xffffff                               // 000000006758: 8652FF52 00FFFFFF
	s_cmp_lt_u32 s82, s66                                      // 000000006760: BF0A4252
	s_cselect_b32 s21, s36, s60                                // 000000006764: 85153C24
	s_mov_b64 exec, s[20:21]                                   // 000000006768: BEFE0114
	buffer_store_dword v57, v6, s[8:11], 0 offen               // 00000000676C: E0701000 80023906
	s_mov_b64 exec, s[36:37]                                   // 000000006774: BEFE0124
	s_branch label_1208                                        // 000000006778: BF8202A6

000000000000677c <label_0F62>:
	ds_write_b64 v20, v[52:53]                                 // 00000000677C: D89A0000 00003414
	ds_write_b64 v20, v[56:57] offset:2176                     // 000000006784: D89A0880 00003814
	ds_write_b64 v20, v[60:61] offset:4352                     // 00000000678C: D89A1100 00003C14
	v_lshrrev_b32_e32 v4, 5, v0                                // 000000006794: 20080085
	v_xor_b32_e32 v5, 1, v4                                    // 000000006798: 2A0A0881
	s_mul_i32 s60, s65, 2                                      // 00000000679C: 923C8241
	s_cmp_eq_u32 s88, 0                                        // 0000000067A0: BF068058
	s_cselect_b32 s61, 1, 4                                    // 0000000067A4: 853D8481
	s_mul_i32 s60, s61, s60                                    // 0000000067A8: 923C3C3D
	v_readlane_b32 s82, v3, 0                                  // 0000000067AC: D2890052 00010103
	s_lshr_b32 s61, s82, 24                                    // 0000000067B4: 8F3D9852
	s_and_b32 s82, s82, 0xffffff                               // 0000000067B8: 8652FF52 00FFFFFF
	s_mul_i32 s82, s82, s71                                    // 0000000067C0: 92524752
	s_mul_i32 s61, s60, s61                                    // 0000000067C4: 923D3D3C
	s_add_u32 s82, s82, s61                                    // 0000000067C8: 80523D52
	v_mul_lo_u32 v6, v5, s82                                   // 0000000067CC: D2850006 0000A505
	v_readlane_b32 s82, v3, 1                                  // 0000000067D4: D2890052 00010303
	s_lshr_b32 s61, s82, 24                                    // 0000000067DC: 8F3D9852
	s_and_b32 s82, s82, 0xffffff                               // 0000000067E0: 8652FF52 00FFFFFF
	s_mul_i32 s82, s82, s71                                    // 0000000067E8: 92524752
	s_mul_i32 s61, s60, s61                                    // 0000000067EC: 923D3D3C
	s_add_u32 s82, s82, s61                                    // 0000000067F0: 80523D52
	v_mul_lo_u32 v7, v4, s82                                   // 0000000067F4: D2850007 0000A504
	v_add_u32_e32 v42, v6, v7                                  // 0000000067FC: 68540F06
	v_readlane_b32 s82, v3, 2                                  // 000000006800: D2890052 00010503
	s_lshr_b32 s61, s82, 24                                    // 000000006808: 8F3D9852
	s_and_b32 s82, s82, 0xffffff                               // 00000000680C: 8652FF52 00FFFFFF
	s_mul_i32 s82, s82, s71                                    // 000000006814: 92524752
	s_mul_i32 s61, s60, s61                                    // 000000006818: 923D3D3C
	s_add_u32 s82, s82, s61                                    // 00000000681C: 80523D52
	v_mul_lo_u32 v6, v5, s82                                   // 000000006820: D2850006 0000A505
	v_readlane_b32 s82, v3, 3                                  // 000000006828: D2890052 00010703
	s_lshr_b32 s61, s82, 24                                    // 000000006830: 8F3D9852
	s_and_b32 s82, s82, 0xffffff                               // 000000006834: 8652FF52 00FFFFFF
	s_mul_i32 s82, s82, s71                                    // 00000000683C: 92524752
	s_mul_i32 s61, s60, s61                                    // 000000006840: 923D3D3C
	s_add_u32 s82, s82, s61                                    // 000000006844: 80523D52
	v_mul_lo_u32 v7, v4, s82                                   // 000000006848: D2850007 0000A504
	v_add_u32_e32 v43, v6, v7                                  // 000000006850: 68560F06
	v_readlane_b32 s82, v3, 4                                  // 000000006854: D2890052 00010903
	s_lshr_b32 s61, s82, 24                                    // 00000000685C: 8F3D9852
	s_and_b32 s82, s82, 0xffffff                               // 000000006860: 8652FF52 00FFFFFF
	s_mul_i32 s82, s82, s71                                    // 000000006868: 92524752
	s_mul_i32 s61, s60, s61                                    // 00000000686C: 923D3D3C
	s_add_u32 s82, s82, s61                                    // 000000006870: 80523D52
	v_mul_lo_u32 v6, v5, s82                                   // 000000006874: D2850006 0000A505
	v_readlane_b32 s82, v3, 5                                  // 00000000687C: D2890052 00010B03
	s_lshr_b32 s61, s82, 24                                    // 000000006884: 8F3D9852
	s_and_b32 s82, s82, 0xffffff                               // 000000006888: 8652FF52 00FFFFFF
	s_mul_i32 s82, s82, s71                                    // 000000006890: 92524752
	s_mul_i32 s61, s60, s61                                    // 000000006894: 923D3D3C
	s_add_u32 s82, s82, s61                                    // 000000006898: 80523D52
	v_mul_lo_u32 v7, v4, s82                                   // 00000000689C: D2850007 0000A504
	v_add_u32_e32 v44, v6, v7                                  // 0000000068A4: 68580F06
	v_readlane_b32 s82, v3, 6                                  // 0000000068A8: D2890052 00010D03
	s_lshr_b32 s61, s82, 24                                    // 0000000068B0: 8F3D9852
	s_and_b32 s82, s82, 0xffffff                               // 0000000068B4: 8652FF52 00FFFFFF
	s_mul_i32 s82, s82, s71                                    // 0000000068BC: 92524752
	s_mul_i32 s61, s60, s61                                    // 0000000068C0: 923D3D3C
	s_add_u32 s82, s82, s61                                    // 0000000068C4: 80523D52
	v_mul_lo_u32 v6, v5, s82                                   // 0000000068C8: D2850006 0000A505
	v_readlane_b32 s82, v3, 7                                  // 0000000068D0: D2890052 00010F03
	s_lshr_b32 s61, s82, 24                                    // 0000000068D8: 8F3D9852
	s_and_b32 s82, s82, 0xffffff                               // 0000000068DC: 8652FF52 00FFFFFF
	s_mul_i32 s82, s82, s71                                    // 0000000068E4: 92524752
	s_mul_i32 s61, s60, s61                                    // 0000000068E8: 923D3D3C
	s_add_u32 s82, s82, s61                                    // 0000000068EC: 80523D52
	v_mul_lo_u32 v7, v4, s82                                   // 0000000068F0: D2850007 0000A504
	v_add_u32_e32 v45, v6, v7                                  // 0000000068F8: 685A0F06
	v_readlane_b32 s82, v3, 8                                  // 0000000068FC: D2890052 00011103
	s_lshr_b32 s61, s82, 24                                    // 000000006904: 8F3D9852
	s_and_b32 s82, s82, 0xffffff                               // 000000006908: 8652FF52 00FFFFFF
	s_mul_i32 s82, s82, s71                                    // 000000006910: 92524752
	s_mul_i32 s61, s60, s61                                    // 000000006914: 923D3D3C
	s_add_u32 s82, s82, s61                                    // 000000006918: 80523D52
	v_mul_lo_u32 v6, v5, s82                                   // 00000000691C: D2850006 0000A505
	v_readlane_b32 s82, v3, 9                                  // 000000006924: D2890052 00011303
	s_lshr_b32 s61, s82, 24                                    // 00000000692C: 8F3D9852
	s_and_b32 s82, s82, 0xffffff                               // 000000006930: 8652FF52 00FFFFFF
	s_mul_i32 s82, s82, s71                                    // 000000006938: 92524752
	s_mul_i32 s61, s60, s61                                    // 00000000693C: 923D3D3C
	s_add_u32 s82, s82, s61                                    // 000000006940: 80523D52
	v_mul_lo_u32 v7, v4, s82                                   // 000000006944: D2850007 0000A504
	v_add_u32_e32 v46, v6, v7                                  // 00000000694C: 685C0F06
	v_readlane_b32 s82, v3, 10                                 // 000000006950: D2890052 00011503
	s_lshr_b32 s61, s82, 24                                    // 000000006958: 8F3D9852
	s_and_b32 s82, s82, 0xffffff                               // 00000000695C: 8652FF52 00FFFFFF
	s_mul_i32 s82, s82, s71                                    // 000000006964: 92524752
	s_mul_i32 s61, s60, s61                                    // 000000006968: 923D3D3C
	s_add_u32 s82, s82, s61                                    // 00000000696C: 80523D52
	v_mul_lo_u32 v6, v5, s82                                   // 000000006970: D2850006 0000A505
	v_readlane_b32 s82, v3, 11                                 // 000000006978: D2890052 00011703
	s_lshr_b32 s61, s82, 24                                    // 000000006980: 8F3D9852
	s_and_b32 s82, s82, 0xffffff                               // 000000006984: 8652FF52 00FFFFFF
	s_mul_i32 s82, s82, s71                                    // 00000000698C: 92524752
	s_mul_i32 s61, s60, s61                                    // 000000006990: 923D3D3C
	s_add_u32 s82, s82, s61                                    // 000000006994: 80523D52
	v_mul_lo_u32 v7, v4, s82                                   // 000000006998: D2850007 0000A504
	v_add_u32_e32 v47, v6, v7                                  // 0000000069A0: 685E0F06
	v_and_b32_e32 v4, 31, v0                                   // 0000000069A4: 2608009F
	v_lshrrev_b32_e32 v4, 1, v4                                // 0000000069A8: 20080881
	s_cmp_eq_u32 s88, 0                                        // 0000000069AC: BF068058
	s_cselect_b32 s61, 2, 4                                    // 0000000069B0: 853D8482
	v_mul_lo_u32 v4, v4, s61                                   // 0000000069B4: D2850004 00007B04
	v_and_b32_e64 v5, v0, 1                                    // 0000000069BC: D1130005 00010300
	v_add_u32_e32 v4, v4, v5                                   // 0000000069C4: 68080B04
	v_lshlrev_b32_e32 v4, 2, v4                                // 0000000069C8: 24080882
	v_add_u32_e32 v42, v42, v4                                 // 0000000069CC: 6854092A
	v_add_u32_e32 v43, v43, v4                                 // 0000000069D0: 6856092B
	v_add_u32_e32 v44, v44, v4                                 // 0000000069D4: 6858092C
	v_add_u32_e32 v45, v45, v4                                 // 0000000069D8: 685A092D
	v_add_u32_e32 v46, v46, v4                                 // 0000000069DC: 685C092E
	v_add_u32_e32 v47, v47, v4                                 // 0000000069E0: 685E092F
	s_waitcnt lgkmcnt(0)                                       // 0000000069E4: BF8CC07F
	s_barrier                                                  // 0000000069E8: BF8A0000
	ds_read_b32 v52, v21                                       // 0000000069EC: D86C0000 34000015
	ds_read_b32 v53, v21 offset:64                             // 0000000069F4: D86C0040 35000015
	ds_read_b32 v56, v21 offset:2176                           // 0000000069FC: D86C0880 38000015
	ds_read_b32 v57, v21 offset:2240                           // 000000006A04: D86C08C0 39000015
	ds_read_b32 v60, v21 offset:4352                           // 000000006A0C: D86C1100 3C000015
	ds_read_b32 v61, v21 offset:4416                           // 000000006A14: D86C1140 3D000015
	s_waitcnt lgkmcnt(0)                                       // 000000006A1C: BF8CC07F
	s_mov_b32 s36, -1                                          // 000000006A20: BEA400C1
	s_mov_b32 s37, -1                                          // 000000006A24: BEA500C1
	v_mov_b32_e32 v7, 0                                        // 000000006A28: 7E0E0280
	s_mov_b64 exec, s[36:37]                                   // 000000006A2C: BEFE0124
	v_mov_b32_e32 v6, v42                                      // 000000006A30: 7E0C032A
	s_mov_b64 s[60:61], 0                                      // 000000006A34: BEBC0180
	v_readlane_b32 s82, v3, 0                                  // 000000006A38: D2890052 00010103
	s_and_b32 s82, s82, 0xffffff                               // 000000006A40: 8652FF52 00FFFFFF
	s_cmp_lt_u32 s82, s66                                      // 000000006A48: BF0A4252
	s_cselect_b32 s20, s36, s60                                // 000000006A4C: 85143C24
	v_readlane_b32 s82, v3, 1                                  // 000000006A50: D2890052 00010303
	s_and_b32 s82, s82, 0xffffff                               // 000000006A58: 8652FF52 00FFFFFF
	s_cmp_lt_u32 s82, s66                                      // 000000006A60: BF0A4252
	s_cselect_b32 s21, s36, s60                                // 000000006A64: 85153C24
	s_mov_b64 exec, s[20:21]                                   // 000000006A68: BEFE0114
	global_atomic_add_f32 v6, v52, s[8:9]                      // 000000006A6C: DD348000 00083406
	s_mov_b64 exec, s[36:37]                                   // 000000006A74: BEFE0124
	v_mov_b32_e32 v6, v43                                      // 000000006A78: 7E0C032B
	s_mov_b64 s[60:61], 0                                      // 000000006A7C: BEBC0180
	v_readlane_b32 s82, v3, 2                                  // 000000006A80: D2890052 00010503
	s_and_b32 s82, s82, 0xffffff                               // 000000006A88: 8652FF52 00FFFFFF
	s_cmp_lt_u32 s82, s66                                      // 000000006A90: BF0A4252
	s_cselect_b32 s20, s36, s60                                // 000000006A94: 85143C24
	v_readlane_b32 s82, v3, 3                                  // 000000006A98: D2890052 00010703
	s_and_b32 s82, s82, 0xffffff                               // 000000006AA0: 8652FF52 00FFFFFF
	s_cmp_lt_u32 s82, s66                                      // 000000006AA8: BF0A4252
	s_cselect_b32 s21, s36, s60                                // 000000006AAC: 85153C24
	s_mov_b64 exec, s[20:21]                                   // 000000006AB0: BEFE0114
	global_atomic_add_f32 v6, v53, s[8:9]                      // 000000006AB4: DD348000 00083506
	s_mov_b64 exec, s[36:37]                                   // 000000006ABC: BEFE0124
	v_mov_b32_e32 v6, v44                                      // 000000006AC0: 7E0C032C
	s_mov_b64 s[60:61], 0                                      // 000000006AC4: BEBC0180
	v_readlane_b32 s82, v3, 4                                  // 000000006AC8: D2890052 00010903
	s_and_b32 s82, s82, 0xffffff                               // 000000006AD0: 8652FF52 00FFFFFF
	s_cmp_lt_u32 s82, s66                                      // 000000006AD8: BF0A4252
	s_cselect_b32 s20, s36, s60                                // 000000006ADC: 85143C24
	v_readlane_b32 s82, v3, 5                                  // 000000006AE0: D2890052 00010B03
	s_and_b32 s82, s82, 0xffffff                               // 000000006AE8: 8652FF52 00FFFFFF
	s_cmp_lt_u32 s82, s66                                      // 000000006AF0: BF0A4252
	s_cselect_b32 s21, s36, s60                                // 000000006AF4: 85153C24
	s_mov_b64 exec, s[20:21]                                   // 000000006AF8: BEFE0114
	global_atomic_add_f32 v6, v56, s[8:9]                      // 000000006AFC: DD348000 00083806
	s_mov_b64 exec, s[36:37]                                   // 000000006B04: BEFE0124
	v_mov_b32_e32 v6, v45                                      // 000000006B08: 7E0C032D
	s_mov_b64 s[60:61], 0                                      // 000000006B0C: BEBC0180
	v_readlane_b32 s82, v3, 6                                  // 000000006B10: D2890052 00010D03
	s_and_b32 s82, s82, 0xffffff                               // 000000006B18: 8652FF52 00FFFFFF
	s_cmp_lt_u32 s82, s66                                      // 000000006B20: BF0A4252
	s_cselect_b32 s20, s36, s60                                // 000000006B24: 85143C24
	v_readlane_b32 s82, v3, 7                                  // 000000006B28: D2890052 00010F03
	s_and_b32 s82, s82, 0xffffff                               // 000000006B30: 8652FF52 00FFFFFF
	s_cmp_lt_u32 s82, s66                                      // 000000006B38: BF0A4252
	s_cselect_b32 s21, s36, s60                                // 000000006B3C: 85153C24
	s_mov_b64 exec, s[20:21]                                   // 000000006B40: BEFE0114
	global_atomic_add_f32 v6, v57, s[8:9]                      // 000000006B44: DD348000 00083906
	s_mov_b64 exec, s[36:37]                                   // 000000006B4C: BEFE0124
	v_mov_b32_e32 v6, v46                                      // 000000006B50: 7E0C032E
	s_mov_b64 s[60:61], 0                                      // 000000006B54: BEBC0180
	v_readlane_b32 s82, v3, 8                                  // 000000006B58: D2890052 00011103
	s_and_b32 s82, s82, 0xffffff                               // 000000006B60: 8652FF52 00FFFFFF
	s_cmp_lt_u32 s82, s66                                      // 000000006B68: BF0A4252
	s_cselect_b32 s20, s36, s60                                // 000000006B6C: 85143C24
	v_readlane_b32 s82, v3, 9                                  // 000000006B70: D2890052 00011303
	s_and_b32 s82, s82, 0xffffff                               // 000000006B78: 8652FF52 00FFFFFF
	s_cmp_lt_u32 s82, s66                                      // 000000006B80: BF0A4252
	s_cselect_b32 s21, s36, s60                                // 000000006B84: 85153C24
	s_mov_b64 exec, s[20:21]                                   // 000000006B88: BEFE0114
	global_atomic_add_f32 v6, v60, s[8:9]                      // 000000006B8C: DD348000 00083C06
	s_mov_b64 exec, s[36:37]                                   // 000000006B94: BEFE0124
	v_mov_b32_e32 v6, v47                                      // 000000006B98: 7E0C032F
	s_mov_b64 s[60:61], 0                                      // 000000006B9C: BEBC0180
	v_readlane_b32 s82, v3, 10                                 // 000000006BA0: D2890052 00011503
	s_and_b32 s82, s82, 0xffffff                               // 000000006BA8: 8652FF52 00FFFFFF
	s_cmp_lt_u32 s82, s66                                      // 000000006BB0: BF0A4252
	s_cselect_b32 s20, s36, s60                                // 000000006BB4: 85143C24
	v_readlane_b32 s82, v3, 11                                 // 000000006BB8: D2890052 00011703
	s_and_b32 s82, s82, 0xffffff                               // 000000006BC0: 8652FF52 00FFFFFF
	s_cmp_lt_u32 s82, s66                                      // 000000006BC8: BF0A4252
	s_cselect_b32 s21, s36, s60                                // 000000006BCC: 85153C24
	s_mov_b64 exec, s[20:21]                                   // 000000006BD0: BEFE0114
	global_atomic_add_f32 v6, v61, s[8:9]                      // 000000006BD4: DD348000 00083D06
	s_mov_b64 exec, s[36:37]                                   // 000000006BDC: BEFE0124
	ds_write_b64 v20, v[54:55]                                 // 000000006BE0: D89A0000 00003614
	ds_write_b64 v20, v[58:59] offset:2176                     // 000000006BE8: D89A0880 00003A14
	ds_write_b64 v20, v[62:63] offset:4352                     // 000000006BF0: D89A1100 00003E14
	s_waitcnt lgkmcnt(0)                                       // 000000006BF8: BF8CC07F
	s_barrier                                                  // 000000006BFC: BF8A0000
	ds_read_b32 v54, v21                                       // 000000006C00: D86C0000 36000015
	ds_read_b32 v55, v21 offset:64                             // 000000006C08: D86C0040 37000015
	ds_read_b32 v58, v21 offset:2176                           // 000000006C10: D86C0880 3A000015
	ds_read_b32 v59, v21 offset:2240                           // 000000006C18: D86C08C0 3B000015
	ds_read_b32 v62, v21 offset:4352                           // 000000006C20: D86C1100 3E000015
	ds_read_b32 v63, v21 offset:4416                           // 000000006C28: D86C1140 3F000015
	s_waitcnt lgkmcnt(0)                                       // 000000006C30: BF8CC07F
	v_mov_b32_e32 v7, 0                                        // 000000006C34: 7E0E0280
	s_mov_b64 exec, s[36:37]                                   // 000000006C38: BEFE0124
	v_mov_b32_e32 v6, v42                                      // 000000006C3C: 7E0C032A
	s_mov_b64 s[60:61], 0                                      // 000000006C40: BEBC0180
	v_readlane_b32 s82, v3, 0                                  // 000000006C44: D2890052 00010103
	s_and_b32 s82, s82, 0xffffff                               // 000000006C4C: 8652FF52 00FFFFFF
	s_cmp_lt_u32 s82, s66                                      // 000000006C54: BF0A4252
	s_cselect_b32 s20, s36, s60                                // 000000006C58: 85143C24
	v_readlane_b32 s82, v3, 1                                  // 000000006C5C: D2890052 00010303
	s_and_b32 s82, s82, 0xffffff                               // 000000006C64: 8652FF52 00FFFFFF
	s_cmp_lt_u32 s82, s66                                      // 000000006C6C: BF0A4252
	s_cselect_b32 s21, s36, s60                                // 000000006C70: 85153C24
	s_mov_b64 exec, s[20:21]                                   // 000000006C74: BEFE0114
	global_atomic_add_f32 v6, v54, s[8:9] offset:8             // 000000006C78: DD348008 00083606
	s_mov_b64 exec, s[36:37]                                   // 000000006C80: BEFE0124
	v_mov_b32_e32 v6, v43                                      // 000000006C84: 7E0C032B
	s_mov_b64 s[60:61], 0                                      // 000000006C88: BEBC0180
	v_readlane_b32 s82, v3, 2                                  // 000000006C8C: D2890052 00010503
	s_and_b32 s82, s82, 0xffffff                               // 000000006C94: 8652FF52 00FFFFFF
	s_cmp_lt_u32 s82, s66                                      // 000000006C9C: BF0A4252
	s_cselect_b32 s20, s36, s60                                // 000000006CA0: 85143C24
	v_readlane_b32 s82, v3, 3                                  // 000000006CA4: D2890052 00010703
	s_and_b32 s82, s82, 0xffffff                               // 000000006CAC: 8652FF52 00FFFFFF
	s_cmp_lt_u32 s82, s66                                      // 000000006CB4: BF0A4252
	s_cselect_b32 s21, s36, s60                                // 000000006CB8: 85153C24
	s_mov_b64 exec, s[20:21]                                   // 000000006CBC: BEFE0114
	global_atomic_add_f32 v6, v55, s[8:9] offset:8             // 000000006CC0: DD348008 00083706
	s_mov_b64 exec, s[36:37]                                   // 000000006CC8: BEFE0124
	v_mov_b32_e32 v6, v44                                      // 000000006CCC: 7E0C032C
	s_mov_b64 s[60:61], 0                                      // 000000006CD0: BEBC0180
	v_readlane_b32 s82, v3, 4                                  // 000000006CD4: D2890052 00010903
	s_and_b32 s82, s82, 0xffffff                               // 000000006CDC: 8652FF52 00FFFFFF
	s_cmp_lt_u32 s82, s66                                      // 000000006CE4: BF0A4252
	s_cselect_b32 s20, s36, s60                                // 000000006CE8: 85143C24
	v_readlane_b32 s82, v3, 5                                  // 000000006CEC: D2890052 00010B03
	s_and_b32 s82, s82, 0xffffff                               // 000000006CF4: 8652FF52 00FFFFFF
	s_cmp_lt_u32 s82, s66                                      // 000000006CFC: BF0A4252
	s_cselect_b32 s21, s36, s60                                // 000000006D00: 85153C24
	s_mov_b64 exec, s[20:21]                                   // 000000006D04: BEFE0114
	global_atomic_add_f32 v6, v58, s[8:9] offset:8             // 000000006D08: DD348008 00083A06
	s_mov_b64 exec, s[36:37]                                   // 000000006D10: BEFE0124
	v_mov_b32_e32 v6, v45                                      // 000000006D14: 7E0C032D
	s_mov_b64 s[60:61], 0                                      // 000000006D18: BEBC0180
	v_readlane_b32 s82, v3, 6                                  // 000000006D1C: D2890052 00010D03
	s_and_b32 s82, s82, 0xffffff                               // 000000006D24: 8652FF52 00FFFFFF
	s_cmp_lt_u32 s82, s66                                      // 000000006D2C: BF0A4252
	s_cselect_b32 s20, s36, s60                                // 000000006D30: 85143C24
	v_readlane_b32 s82, v3, 7                                  // 000000006D34: D2890052 00010F03
	s_and_b32 s82, s82, 0xffffff                               // 000000006D3C: 8652FF52 00FFFFFF
	s_cmp_lt_u32 s82, s66                                      // 000000006D44: BF0A4252
	s_cselect_b32 s21, s36, s60                                // 000000006D48: 85153C24
	s_mov_b64 exec, s[20:21]                                   // 000000006D4C: BEFE0114
	global_atomic_add_f32 v6, v59, s[8:9] offset:8             // 000000006D50: DD348008 00083B06
	s_mov_b64 exec, s[36:37]                                   // 000000006D58: BEFE0124
	v_mov_b32_e32 v6, v46                                      // 000000006D5C: 7E0C032E
	s_mov_b64 s[60:61], 0                                      // 000000006D60: BEBC0180
	v_readlane_b32 s82, v3, 8                                  // 000000006D64: D2890052 00011103
	s_and_b32 s82, s82, 0xffffff                               // 000000006D6C: 8652FF52 00FFFFFF
	s_cmp_lt_u32 s82, s66                                      // 000000006D74: BF0A4252
	s_cselect_b32 s20, s36, s60                                // 000000006D78: 85143C24
	v_readlane_b32 s82, v3, 9                                  // 000000006D7C: D2890052 00011303
	s_and_b32 s82, s82, 0xffffff                               // 000000006D84: 8652FF52 00FFFFFF
	s_cmp_lt_u32 s82, s66                                      // 000000006D8C: BF0A4252
	s_cselect_b32 s21, s36, s60                                // 000000006D90: 85153C24
	s_mov_b64 exec, s[20:21]                                   // 000000006D94: BEFE0114
	global_atomic_add_f32 v6, v62, s[8:9] offset:8             // 000000006D98: DD348008 00083E06
	s_mov_b64 exec, s[36:37]                                   // 000000006DA0: BEFE0124
	v_mov_b32_e32 v6, v47                                      // 000000006DA4: 7E0C032F
	s_mov_b64 s[60:61], 0                                      // 000000006DA8: BEBC0180
	v_readlane_b32 s82, v3, 10                                 // 000000006DAC: D2890052 00011503
	s_and_b32 s82, s82, 0xffffff                               // 000000006DB4: 8652FF52 00FFFFFF
	s_cmp_lt_u32 s82, s66                                      // 000000006DBC: BF0A4252
	s_cselect_b32 s20, s36, s60                                // 000000006DC0: 85143C24
	v_readlane_b32 s82, v3, 11                                 // 000000006DC4: D2890052 00011703
	s_and_b32 s82, s82, 0xffffff                               // 000000006DCC: 8652FF52 00FFFFFF
	s_cmp_lt_u32 s82, s66                                      // 000000006DD4: BF0A4252
	s_cselect_b32 s21, s36, s60                                // 000000006DD8: 85153C24
	s_mov_b64 exec, s[20:21]                                   // 000000006DDC: BEFE0114
	global_atomic_add_f32 v6, v63, s[8:9] offset:8             // 000000006DE0: DD348008 00083F06
	s_mov_b64 exec, s[36:37]                                   // 000000006DE8: BEFE0124
	ds_write_b64 v20, v[64:65]                                 // 000000006DEC: D89A0000 00004014
	ds_write_b64 v20, v[68:69] offset:2176                     // 000000006DF4: D89A0880 00004414
	ds_write_b64 v20, v[72:73] offset:4352                     // 000000006DFC: D89A1100 00004814
	s_waitcnt lgkmcnt(0)                                       // 000000006E04: BF8CC07F
	s_barrier                                                  // 000000006E08: BF8A0000
	ds_read_b32 v64, v21                                       // 000000006E0C: D86C0000 40000015
	ds_read_b32 v65, v21 offset:64                             // 000000006E14: D86C0040 41000015
	ds_read_b32 v68, v21 offset:2176                           // 000000006E1C: D86C0880 44000015
	ds_read_b32 v69, v21 offset:2240                           // 000000006E24: D86C08C0 45000015
	ds_read_b32 v72, v21 offset:4352                           // 000000006E2C: D86C1100 48000015
	ds_read_b32 v73, v21 offset:4416                           // 000000006E34: D86C1140 49000015
	s_mul_i32 s60, s65, 4                                      // 000000006E3C: 923C8441
	s_add_u32 s8, s60, s8                                      // 000000006E40: 8008083C
	s_addc_u32 s9, 0, s9                                       // 000000006E44: 82090980
	s_waitcnt lgkmcnt(0)                                       // 000000006E48: BF8CC07F
	v_mov_b32_e32 v7, 0                                        // 000000006E4C: 7E0E0280
	s_mov_b64 exec, s[36:37]                                   // 000000006E50: BEFE0124
	v_mov_b32_e32 v6, v42                                      // 000000006E54: 7E0C032A
	s_mov_b64 s[60:61], 0                                      // 000000006E58: BEBC0180
	v_readlane_b32 s82, v3, 0                                  // 000000006E5C: D2890052 00010103
	s_and_b32 s82, s82, 0xffffff                               // 000000006E64: 8652FF52 00FFFFFF
	s_cmp_lt_u32 s82, s66                                      // 000000006E6C: BF0A4252
	s_cselect_b32 s20, s36, s60                                // 000000006E70: 85143C24
	v_readlane_b32 s82, v3, 1                                  // 000000006E74: D2890052 00010303
	s_and_b32 s82, s82, 0xffffff                               // 000000006E7C: 8652FF52 00FFFFFF
	s_cmp_lt_u32 s82, s66                                      // 000000006E84: BF0A4252
	s_cselect_b32 s21, s36, s60                                // 000000006E88: 85153C24
	s_mov_b64 exec, s[20:21]                                   // 000000006E8C: BEFE0114
	global_atomic_add_f32 v6, v64, s[8:9]                      // 000000006E90: DD348000 00084006
	s_mov_b64 exec, s[36:37]                                   // 000000006E98: BEFE0124
	v_mov_b32_e32 v6, v43                                      // 000000006E9C: 7E0C032B
	s_mov_b64 s[60:61], 0                                      // 000000006EA0: BEBC0180
	v_readlane_b32 s82, v3, 2                                  // 000000006EA4: D2890052 00010503
	s_and_b32 s82, s82, 0xffffff                               // 000000006EAC: 8652FF52 00FFFFFF
	s_cmp_lt_u32 s82, s66                                      // 000000006EB4: BF0A4252
	s_cselect_b32 s20, s36, s60                                // 000000006EB8: 85143C24
	v_readlane_b32 s82, v3, 3                                  // 000000006EBC: D2890052 00010703
	s_and_b32 s82, s82, 0xffffff                               // 000000006EC4: 8652FF52 00FFFFFF
	s_cmp_lt_u32 s82, s66                                      // 000000006ECC: BF0A4252
	s_cselect_b32 s21, s36, s60                                // 000000006ED0: 85153C24
	s_mov_b64 exec, s[20:21]                                   // 000000006ED4: BEFE0114
	global_atomic_add_f32 v6, v65, s[8:9]                      // 000000006ED8: DD348000 00084106
	s_mov_b64 exec, s[36:37]                                   // 000000006EE0: BEFE0124
	v_mov_b32_e32 v6, v44                                      // 000000006EE4: 7E0C032C
	s_mov_b64 s[60:61], 0                                      // 000000006EE8: BEBC0180
	v_readlane_b32 s82, v3, 4                                  // 000000006EEC: D2890052 00010903
	s_and_b32 s82, s82, 0xffffff                               // 000000006EF4: 8652FF52 00FFFFFF
	s_cmp_lt_u32 s82, s66                                      // 000000006EFC: BF0A4252
	s_cselect_b32 s20, s36, s60                                // 000000006F00: 85143C24
	v_readlane_b32 s82, v3, 5                                  // 000000006F04: D2890052 00010B03
	s_and_b32 s82, s82, 0xffffff                               // 000000006F0C: 8652FF52 00FFFFFF
	s_cmp_lt_u32 s82, s66                                      // 000000006F14: BF0A4252
	s_cselect_b32 s21, s36, s60                                // 000000006F18: 85153C24
	s_mov_b64 exec, s[20:21]                                   // 000000006F1C: BEFE0114
	global_atomic_add_f32 v6, v68, s[8:9]                      // 000000006F20: DD348000 00084406
	s_mov_b64 exec, s[36:37]                                   // 000000006F28: BEFE0124
	v_mov_b32_e32 v6, v45                                      // 000000006F2C: 7E0C032D
	s_mov_b64 s[60:61], 0                                      // 000000006F30: BEBC0180
	v_readlane_b32 s82, v3, 6                                  // 000000006F34: D2890052 00010D03
	s_and_b32 s82, s82, 0xffffff                               // 000000006F3C: 8652FF52 00FFFFFF
	s_cmp_lt_u32 s82, s66                                      // 000000006F44: BF0A4252
	s_cselect_b32 s20, s36, s60                                // 000000006F48: 85143C24
	v_readlane_b32 s82, v3, 7                                  // 000000006F4C: D2890052 00010F03
	s_and_b32 s82, s82, 0xffffff                               // 000000006F54: 8652FF52 00FFFFFF
	s_cmp_lt_u32 s82, s66                                      // 000000006F5C: BF0A4252
	s_cselect_b32 s21, s36, s60                                // 000000006F60: 85153C24
	s_mov_b64 exec, s[20:21]                                   // 000000006F64: BEFE0114
	global_atomic_add_f32 v6, v69, s[8:9]                      // 000000006F68: DD348000 00084506
	s_mov_b64 exec, s[36:37]                                   // 000000006F70: BEFE0124
	v_mov_b32_e32 v6, v46                                      // 000000006F74: 7E0C032E
	s_mov_b64 s[60:61], 0                                      // 000000006F78: BEBC0180
	v_readlane_b32 s82, v3, 8                                  // 000000006F7C: D2890052 00011103
	s_and_b32 s82, s82, 0xffffff                               // 000000006F84: 8652FF52 00FFFFFF
	s_cmp_lt_u32 s82, s66                                      // 000000006F8C: BF0A4252
	s_cselect_b32 s20, s36, s60                                // 000000006F90: 85143C24
	v_readlane_b32 s82, v3, 9                                  // 000000006F94: D2890052 00011303
	s_and_b32 s82, s82, 0xffffff                               // 000000006F9C: 8652FF52 00FFFFFF
	s_cmp_lt_u32 s82, s66                                      // 000000006FA4: BF0A4252
	s_cselect_b32 s21, s36, s60                                // 000000006FA8: 85153C24
	s_mov_b64 exec, s[20:21]                                   // 000000006FAC: BEFE0114
	global_atomic_add_f32 v6, v72, s[8:9]                      // 000000006FB0: DD348000 00084806
	s_mov_b64 exec, s[36:37]                                   // 000000006FB8: BEFE0124
	v_mov_b32_e32 v6, v47                                      // 000000006FBC: 7E0C032F
	s_mov_b64 s[60:61], 0                                      // 000000006FC0: BEBC0180
	v_readlane_b32 s82, v3, 10                                 // 000000006FC4: D2890052 00011503
	s_and_b32 s82, s82, 0xffffff                               // 000000006FCC: 8652FF52 00FFFFFF
	s_cmp_lt_u32 s82, s66                                      // 000000006FD4: BF0A4252
	s_cselect_b32 s20, s36, s60                                // 000000006FD8: 85143C24
	v_readlane_b32 s82, v3, 11                                 // 000000006FDC: D2890052 00011703
	s_and_b32 s82, s82, 0xffffff                               // 000000006FE4: 8652FF52 00FFFFFF
	s_cmp_lt_u32 s82, s66                                      // 000000006FEC: BF0A4252
	s_cselect_b32 s21, s36, s60                                // 000000006FF0: 85153C24
	s_mov_b64 exec, s[20:21]                                   // 000000006FF4: BEFE0114
	global_atomic_add_f32 v6, v73, s[8:9]                      // 000000006FF8: DD348000 00084906
	s_mov_b64 exec, s[36:37]                                   // 000000007000: BEFE0124
	ds_write_b64 v20, v[66:67]                                 // 000000007004: D89A0000 00004214
	ds_write_b64 v20, v[70:71] offset:2176                     // 00000000700C: D89A0880 00004614
	ds_write_b64 v20, v[74:75] offset:4352                     // 000000007014: D89A1100 00004A14
	s_waitcnt lgkmcnt(0)                                       // 00000000701C: BF8CC07F
	s_barrier                                                  // 000000007020: BF8A0000
	ds_read_b32 v66, v21                                       // 000000007024: D86C0000 42000015
	ds_read_b32 v67, v21 offset:64                             // 00000000702C: D86C0040 43000015
	ds_read_b32 v70, v21 offset:2176                           // 000000007034: D86C0880 46000015
	ds_read_b32 v71, v21 offset:2240                           // 00000000703C: D86C08C0 47000015
	ds_read_b32 v74, v21 offset:4352                           // 000000007044: D86C1100 4A000015
	ds_read_b32 v75, v21 offset:4416                           // 00000000704C: D86C1140 4B000015
	s_waitcnt lgkmcnt(0)                                       // 000000007054: BF8CC07F
	v_mov_b32_e32 v7, 0                                        // 000000007058: 7E0E0280
	s_mov_b64 exec, s[36:37]                                   // 00000000705C: BEFE0124
	v_mov_b32_e32 v6, v42                                      // 000000007060: 7E0C032A
	s_mov_b64 s[60:61], 0                                      // 000000007064: BEBC0180
	v_readlane_b32 s82, v3, 0                                  // 000000007068: D2890052 00010103
	s_and_b32 s82, s82, 0xffffff                               // 000000007070: 8652FF52 00FFFFFF
	s_cmp_lt_u32 s82, s66                                      // 000000007078: BF0A4252
	s_cselect_b32 s20, s36, s60                                // 00000000707C: 85143C24
	v_readlane_b32 s82, v3, 1                                  // 000000007080: D2890052 00010303
	s_and_b32 s82, s82, 0xffffff                               // 000000007088: 8652FF52 00FFFFFF
	s_cmp_lt_u32 s82, s66                                      // 000000007090: BF0A4252
	s_cselect_b32 s21, s36, s60                                // 000000007094: 85153C24
	s_mov_b64 exec, s[20:21]                                   // 000000007098: BEFE0114
	global_atomic_add_f32 v6, v66, s[8:9] offset:8             // 00000000709C: DD348008 00084206
	s_mov_b64 exec, s[36:37]                                   // 0000000070A4: BEFE0124
	v_mov_b32_e32 v6, v43                                      // 0000000070A8: 7E0C032B
	s_mov_b64 s[60:61], 0                                      // 0000000070AC: BEBC0180
	v_readlane_b32 s82, v3, 2                                  // 0000000070B0: D2890052 00010503
	s_and_b32 s82, s82, 0xffffff                               // 0000000070B8: 8652FF52 00FFFFFF
	s_cmp_lt_u32 s82, s66                                      // 0000000070C0: BF0A4252
	s_cselect_b32 s20, s36, s60                                // 0000000070C4: 85143C24
	v_readlane_b32 s82, v3, 3                                  // 0000000070C8: D2890052 00010703
	s_and_b32 s82, s82, 0xffffff                               // 0000000070D0: 8652FF52 00FFFFFF
	s_cmp_lt_u32 s82, s66                                      // 0000000070D8: BF0A4252
	s_cselect_b32 s21, s36, s60                                // 0000000070DC: 85153C24
	s_mov_b64 exec, s[20:21]                                   // 0000000070E0: BEFE0114
	global_atomic_add_f32 v6, v67, s[8:9] offset:8             // 0000000070E4: DD348008 00084306
	s_mov_b64 exec, s[36:37]                                   // 0000000070EC: BEFE0124
	v_mov_b32_e32 v6, v44                                      // 0000000070F0: 7E0C032C
	s_mov_b64 s[60:61], 0                                      // 0000000070F4: BEBC0180
	v_readlane_b32 s82, v3, 4                                  // 0000000070F8: D2890052 00010903
	s_and_b32 s82, s82, 0xffffff                               // 000000007100: 8652FF52 00FFFFFF
	s_cmp_lt_u32 s82, s66                                      // 000000007108: BF0A4252
	s_cselect_b32 s20, s36, s60                                // 00000000710C: 85143C24
	v_readlane_b32 s82, v3, 5                                  // 000000007110: D2890052 00010B03
	s_and_b32 s82, s82, 0xffffff                               // 000000007118: 8652FF52 00FFFFFF
	s_cmp_lt_u32 s82, s66                                      // 000000007120: BF0A4252
	s_cselect_b32 s21, s36, s60                                // 000000007124: 85153C24
	s_mov_b64 exec, s[20:21]                                   // 000000007128: BEFE0114
	global_atomic_add_f32 v6, v70, s[8:9] offset:8             // 00000000712C: DD348008 00084606
	s_mov_b64 exec, s[36:37]                                   // 000000007134: BEFE0124
	v_mov_b32_e32 v6, v45                                      // 000000007138: 7E0C032D
	s_mov_b64 s[60:61], 0                                      // 00000000713C: BEBC0180
	v_readlane_b32 s82, v3, 6                                  // 000000007140: D2890052 00010D03
	s_and_b32 s82, s82, 0xffffff                               // 000000007148: 8652FF52 00FFFFFF
	s_cmp_lt_u32 s82, s66                                      // 000000007150: BF0A4252
	s_cselect_b32 s20, s36, s60                                // 000000007154: 85143C24
	v_readlane_b32 s82, v3, 7                                  // 000000007158: D2890052 00010F03
	s_and_b32 s82, s82, 0xffffff                               // 000000007160: 8652FF52 00FFFFFF
	s_cmp_lt_u32 s82, s66                                      // 000000007168: BF0A4252
	s_cselect_b32 s21, s36, s60                                // 00000000716C: 85153C24
	s_mov_b64 exec, s[20:21]                                   // 000000007170: BEFE0114
	global_atomic_add_f32 v6, v71, s[8:9] offset:8             // 000000007174: DD348008 00084706
	s_mov_b64 exec, s[36:37]                                   // 00000000717C: BEFE0124
	v_mov_b32_e32 v6, v46                                      // 000000007180: 7E0C032E
	s_mov_b64 s[60:61], 0                                      // 000000007184: BEBC0180
	v_readlane_b32 s82, v3, 8                                  // 000000007188: D2890052 00011103
	s_and_b32 s82, s82, 0xffffff                               // 000000007190: 8652FF52 00FFFFFF
	s_cmp_lt_u32 s82, s66                                      // 000000007198: BF0A4252
	s_cselect_b32 s20, s36, s60                                // 00000000719C: 85143C24
	v_readlane_b32 s82, v3, 9                                  // 0000000071A0: D2890052 00011303
	s_and_b32 s82, s82, 0xffffff                               // 0000000071A8: 8652FF52 00FFFFFF
	s_cmp_lt_u32 s82, s66                                      // 0000000071B0: BF0A4252
	s_cselect_b32 s21, s36, s60                                // 0000000071B4: 85153C24
	s_mov_b64 exec, s[20:21]                                   // 0000000071B8: BEFE0114
	global_atomic_add_f32 v6, v74, s[8:9] offset:8             // 0000000071BC: DD348008 00084A06
	s_mov_b64 exec, s[36:37]                                   // 0000000071C4: BEFE0124
	v_mov_b32_e32 v6, v47                                      // 0000000071C8: 7E0C032F
	s_mov_b64 s[60:61], 0                                      // 0000000071CC: BEBC0180
	v_readlane_b32 s82, v3, 10                                 // 0000000071D0: D2890052 00011503
	s_and_b32 s82, s82, 0xffffff                               // 0000000071D8: 8652FF52 00FFFFFF
	s_cmp_lt_u32 s82, s66                                      // 0000000071E0: BF0A4252
	s_cselect_b32 s20, s36, s60                                // 0000000071E4: 85143C24
	v_readlane_b32 s82, v3, 11                                 // 0000000071E8: D2890052 00011703
	s_and_b32 s82, s82, 0xffffff                               // 0000000071F0: 8652FF52 00FFFFFF
	s_cmp_lt_u32 s82, s66                                      // 0000000071F8: BF0A4252
	s_cselect_b32 s21, s36, s60                                // 0000000071FC: 85153C24
	s_mov_b64 exec, s[20:21]                                   // 000000007200: BEFE0114
	global_atomic_add_f32 v6, v75, s[8:9] offset:8             // 000000007204: DD348008 00084B06
	s_mov_b64 exec, s[36:37]                                   // 00000000720C: BEFE0124
	s_branch label_1208                                        // 000000007210: BF820000

0000000000007214 <label_1208>:
	s_waitcnt vmcnt(0) expcnt(0) lgkmcnt(0)                    // 000000007214: BF8C0000
	s_endpgm                                                   // 000000007218: BF810000
